;; amdgpu-corpus repo=ROCm/rocFFT kind=compiled arch=gfx906 opt=O3
	.text
	.amdgcn_target "amdgcn-amd-amdhsa--gfx906"
	.amdhsa_code_object_version 6
	.protected	bluestein_single_fwd_len680_dim1_dp_op_CI_CI ; -- Begin function bluestein_single_fwd_len680_dim1_dp_op_CI_CI
	.globl	bluestein_single_fwd_len680_dim1_dp_op_CI_CI
	.p2align	8
	.type	bluestein_single_fwd_len680_dim1_dp_op_CI_CI,@function
bluestein_single_fwd_len680_dim1_dp_op_CI_CI: ; @bluestein_single_fwd_len680_dim1_dp_op_CI_CI
; %bb.0:
	s_mov_b64 s[66:67], s[2:3]
	v_mul_u32_u24_e32 v1, 0x3c4, v0
	s_mov_b64 s[64:65], s[0:1]
	s_load_dwordx4 s[0:3], s[4:5], 0x28
	v_lshrrev_b32_e32 v1, 16, v1
	s_add_u32 s64, s64, s7
	v_mad_u64_u32 v[176:177], s[6:7], s6, 3, v[1:2]
	v_mov_b32_e32 v177, 0
	s_addc_u32 s65, s65, 0
	s_waitcnt lgkmcnt(0)
	v_cmp_gt_u64_e32 vcc, s[0:1], v[176:177]
	s_and_saveexec_b64 s[0:1], vcc
	s_cbranch_execz .LBB0_23
; %bb.1:
	s_mov_b32 s0, 0xaaaaaaab
	v_mul_hi_u32 v2, v176, s0
	v_mul_lo_u16_e32 v1, 0x44, v1
	s_load_dwordx2 s[12:13], s[4:5], 0x0
	s_load_dwordx2 s[14:15], s[4:5], 0x38
	v_sub_u16_e32 v148, v0, v1
	v_lshrrev_b32_e32 v0, 1, v2
	v_lshl_add_u32 v0, v0, 1, v0
	v_sub_u32_e32 v0, v176, v0
	v_mul_u32_u24_e32 v235, 0x2a8, v0
	v_lshlrev_b32_e32 v0, 4, v148
	v_cmp_gt_u16_e32 vcc, 40, v148
	buffer_store_dword v0, off, s[64:67], 0 offset:8 ; 4-byte Folded Spill
	v_lshlrev_b32_e32 v0, 4, v235
	buffer_store_dword v0, off, s[64:67], 0 offset:4 ; 4-byte Folded Spill
	s_and_saveexec_b64 s[6:7], vcc
	s_cbranch_execz .LBB0_3
; %bb.2:
	s_load_dwordx2 s[0:1], s[4:5], 0x18
	v_lshlrev_b32_e32 v149, 4, v148
	v_or_b32_e32 v68, 0x140, v148
	s_waitcnt lgkmcnt(0)
	v_mov_b32_e32 v56, s13
	v_mov_b32_e32 v69, 0x500
	s_load_dwordx4 s[8:11], s[0:1], 0x0
	v_or_b32_e32 v134, 0x280, v148
	s_waitcnt lgkmcnt(0)
	v_mad_u64_u32 v[0:1], s[0:1], s10, v176, 0
	v_mad_u64_u32 v[2:3], s[0:1], s8, v148, 0
	s_movk_i32 s10, 0x1000
	v_mad_u64_u32 v[4:5], s[0:1], s11, v176, v[1:2]
	v_mad_u64_u32 v[5:6], s[0:1], s9, v148, v[3:4]
	v_mov_b32_e32 v1, v4
	v_lshlrev_b64 v[0:1], 4, v[0:1]
	v_mov_b32_e32 v3, v5
	v_mov_b32_e32 v6, s3
	v_lshlrev_b64 v[2:3], 4, v[2:3]
	v_add_co_u32_e64 v16, s[0:1], s2, v0
	v_addc_co_u32_e64 v17, s[0:1], v6, v1, s[0:1]
	v_add_co_u32_e64 v18, s[0:1], v16, v2
	v_addc_co_u32_e64 v19, s[0:1], v17, v3, s[0:1]
	s_mul_i32 s0, s9, 0x280
	s_mul_hi_u32 s3, s8, 0x280
	s_add_i32 s3, s3, s0
	s_mul_i32 s2, s8, 0x280
	v_mov_b32_e32 v0, s3
	v_add_co_u32_e64 v20, s[0:1], s2, v18
	v_addc_co_u32_e64 v21, s[0:1], v19, v0, s[0:1]
	global_load_dwordx4 v[0:3], v[18:19], off
	global_load_dwordx4 v[4:7], v[20:21], off
                                        ; kill: killed $vgpr18 killed $vgpr19
	v_mov_b32_e32 v18, s3
	v_add_co_u32_e64 v34, s[0:1], s2, v20
	v_addc_co_u32_e64 v35, s[0:1], v21, v18, s[0:1]
	v_add_co_u32_e64 v36, s[0:1], s2, v34
	v_addc_co_u32_e64 v37, s[0:1], v35, v18, s[0:1]
	global_load_dwordx4 v[8:11], v149, s[12:13]
	global_load_dwordx4 v[12:15], v149, s[12:13] offset:640
	global_load_dwordx4 v[18:21], v[34:35], off
	global_load_dwordx4 v[22:25], v[36:37], off
	global_load_dwordx4 v[26:29], v149, s[12:13] offset:1280
	global_load_dwordx4 v[30:33], v149, s[12:13] offset:1920
                                        ; kill: killed $vgpr34 killed $vgpr35
	v_mov_b32_e32 v34, s3
	v_add_co_u32_e64 v38, s[0:1], s2, v36
	v_addc_co_u32_e64 v39, s[0:1], v37, v34, s[0:1]
	v_mov_b32_e32 v40, s3
	v_add_co_u32_e64 v54, s[0:1], s2, v38
	v_addc_co_u32_e64 v55, s[0:1], v39, v40, s[0:1]
	v_mad_u64_u32 v[62:63], s[0:1], s8, v68, 0
	v_add_co_u32_e64 v112, s[0:1], s12, v149
	v_addc_co_u32_e64 v113, s[0:1], 0, v56, s[0:1]
	v_mov_b32_e32 v57, s3
	v_mov_b32_e32 v56, v63
	v_mad_u64_u32 v[63:64], s[0:1], s9, v68, v[56:57]
	v_add_co_u32_e64 v58, s[0:1], s2, v54
	v_addc_co_u32_e64 v59, s[0:1], v55, v57, s[0:1]
	v_mov_b32_e32 v60, s3
	v_add_co_u32_e64 v66, s[0:1], s2, v58
	v_addc_co_u32_e64 v67, s[0:1], v59, v60, s[0:1]
	v_add_co_u32_e64 v106, s[0:1], s10, v112
	v_lshlrev_b64 v[62:63], 4, v[62:63]
	v_addc_co_u32_e64 v107, s[0:1], 0, v113, s[0:1]
	v_add_co_u32_e64 v62, s[0:1], v16, v62
	v_addc_co_u32_e64 v63, s[0:1], v17, v63, s[0:1]
	v_mad_u64_u32 v[82:83], s[0:1], s8, v69, v[66:67]
	s_mul_i32 s0, s9, 0x500
	v_mov_b32_e32 v84, s3
	v_add_u32_e32 v83, s0, v83
	v_add_co_u32_e64 v86, s[0:1], s2, v82
	v_addc_co_u32_e64 v87, s[0:1], v83, v84, s[0:1]
	global_load_dwordx4 v[34:37], v[38:39], off
	v_mov_b32_e32 v88, s3
	v_add_co_u32_e64 v98, s[0:1], s2, v86
	v_addc_co_u32_e64 v99, s[0:1], v87, v88, s[0:1]
	global_load_dwordx4 v[38:41], v149, s[12:13] offset:2560
	global_load_dwordx4 v[42:45], v149, s[12:13] offset:3200
	global_load_dwordx4 v[46:49], v[54:55], off
	v_mov_b32_e32 v100, s3
	v_add_co_u32_e64 v108, s[0:1], s2, v98
	global_load_dwordx4 v[54:57], v[58:59], off
	v_addc_co_u32_e64 v109, s[0:1], v99, v100, s[0:1]
	global_load_dwordx4 v[58:61], v[66:67], off
	v_lshlrev_b32_e32 v66, 4, v68
	global_load_dwordx4 v[50:53], v149, s[12:13] offset:3840
                                        ; kill: killed $vgpr106 killed $vgpr107
	v_add_co_u32_e64 v110, s[0:1], s2, v108
	global_load_dwordx4 v[66:69], v66, s[12:13]
	v_mov_b32_e32 v125, s3
	global_load_dwordx4 v[62:65], v[62:63], off
	s_nop 0
	global_load_dwordx4 v[70:73], v[82:83], off
	global_load_dwordx4 v[74:77], v[106:107], off offset:384
	global_load_dwordx4 v[78:81], v[106:107], off offset:1664
	s_waitcnt vmcnt(13)
	v_mul_f64 v[140:141], v[20:21], v[28:29]
	global_load_dwordx4 v[82:85], v[86:87], off
	s_nop 0
	global_load_dwordx4 v[86:89], v[98:99], off
	global_load_dwordx4 v[90:93], v[106:107], off offset:2304
	global_load_dwordx4 v[94:97], v[106:107], off offset:2944
	s_nop 0
	global_load_dwordx4 v[98:101], v[108:109], off
	global_load_dwordx4 v[102:105], v[106:107], off offset:3584
	v_mov_b32_e32 v106, s3
	v_addc_co_u32_e64 v111, s[0:1], v109, v106, s[0:1]
	s_movk_i32 s0, 0x2000
	v_add_co_u32_e64 v126, s[0:1], s0, v112
	v_addc_co_u32_e64 v127, s[0:1], 0, v113, s[0:1]
	v_mov_b32_e32 v112, s3
	v_add_co_u32_e64 v122, s[0:1], s2, v110
	v_addc_co_u32_e64 v123, s[0:1], v111, v112, s[0:1]
	v_mad_u64_u32 v[130:131], s[0:1], s8, v134, 0
	global_load_dwordx4 v[106:109], v[110:111], off
	v_mul_f64 v[28:29], v[18:19], v[28:29]
	v_mov_b32_e32 v124, v131
	v_mad_u64_u32 v[131:132], s[0:1], s9, v134, v[124:125]
	global_load_dwordx4 v[110:113], v[122:123], off
	v_add_co_u32_e64 v122, s[0:1], s2, v122
	v_lshlrev_b64 v[130:131], 4, v[130:131]
	v_addc_co_u32_e64 v123, s[0:1], v123, v125, s[0:1]
	v_add_co_u32_e64 v16, s[0:1], v16, v130
	global_load_dwordx4 v[114:117], v[126:127], off offset:128
	global_load_dwordx4 v[118:121], v[126:127], off offset:768
	v_addc_co_u32_e64 v17, s[0:1], v17, v131, s[0:1]
	global_load_dwordx4 v[122:125], v[122:123], off
	s_nop 0
	global_load_dwordx4 v[126:129], v[126:127], off offset:1408
	v_mul_f64 v[138:139], v[6:7], v[14:15]
	global_load_dwordx4 v[130:133], v[16:17], off
	v_lshlrev_b32_e32 v16, 4, v134
	global_load_dwordx4 v[134:137], v16, s[12:13]
	v_mul_f64 v[16:17], v[2:3], v[10:11]
	v_mul_f64 v[10:11], v[0:1], v[10:11]
	;; [unrolled: 1-line block ×3, first 2 shown]
	s_waitcnt vmcnt(26)
	v_mul_f64 v[142:143], v[24:25], v[32:33]
	v_mul_f64 v[32:33], v[22:23], v[32:33]
	v_fma_f64 v[4:5], v[4:5], v[12:13], v[138:139]
	v_fma_f64 v[0:1], v[0:1], v[8:9], v[16:17]
	v_fma_f64 v[2:3], v[2:3], v[8:9], -v[10:11]
	v_fma_f64 v[8:9], v[18:19], v[26:27], v[140:141]
	v_fma_f64 v[10:11], v[20:21], v[26:27], -v[28:29]
	v_fma_f64 v[6:7], v[6:7], v[12:13], -v[14:15]
	s_waitcnt vmcnt(24)
	v_mul_f64 v[144:145], v[36:37], v[40:41]
	v_mul_f64 v[40:41], v[34:35], v[40:41]
	s_waitcnt vmcnt(22)
	v_mul_f64 v[146:147], v[48:49], v[44:45]
	v_mul_f64 v[44:45], v[46:47], v[44:45]
	v_fma_f64 v[12:13], v[22:23], v[30:31], v[142:143]
	v_fma_f64 v[14:15], v[24:25], v[30:31], -v[32:33]
	v_fma_f64 v[16:17], v[34:35], v[38:39], v[144:145]
	v_fma_f64 v[18:19], v[36:37], v[38:39], -v[40:41]
	v_fma_f64 v[20:21], v[46:47], v[42:43], v[146:147]
	s_waitcnt vmcnt(19)
	v_mul_f64 v[26:27], v[56:57], v[52:53]
	v_mul_f64 v[28:29], v[54:55], v[52:53]
	v_fma_f64 v[22:23], v[48:49], v[42:43], -v[44:45]
	s_waitcnt vmcnt(15)
	v_mul_f64 v[30:31], v[60:61], v[76:77]
	v_mul_f64 v[32:33], v[58:59], v[76:77]
	;; [unrolled: 1-line block ×4, first 2 shown]
	v_fma_f64 v[24:25], v[54:55], v[50:51], v[26:27]
	v_fma_f64 v[26:27], v[56:57], v[50:51], -v[28:29]
	v_lshlrev_b32_e32 v29, 4, v235
	v_lshl_add_u32 v28, v148, 4, v29
	ds_write_b128 v28, v[0:3]
	v_fma_f64 v[0:1], v[58:59], v[74:75], v[30:31]
	v_fma_f64 v[2:3], v[60:61], v[74:75], -v[32:33]
	v_add_u32_e32 v38, v29, v149
	v_fma_f64 v[28:29], v[62:63], v[66:67], v[34:35]
	v_fma_f64 v[30:31], v[64:65], v[66:67], -v[36:37]
	ds_write_b128 v38, v[4:7] offset:640
	ds_write_b128 v38, v[8:11] offset:1280
	;; [unrolled: 1-line block ×8, first 2 shown]
	s_waitcnt vmcnt(14)
	v_mul_f64 v[0:1], v[72:73], v[80:81]
	v_mul_f64 v[2:3], v[70:71], v[80:81]
	s_waitcnt vmcnt(11)
	v_mul_f64 v[4:5], v[84:85], v[92:93]
	v_mul_f64 v[6:7], v[82:83], v[92:93]
	;; [unrolled: 3-line block ×4, first 2 shown]
	v_fma_f64 v[0:1], v[70:71], v[78:79], v[0:1]
	v_fma_f64 v[2:3], v[72:73], v[78:79], -v[2:3]
	v_fma_f64 v[4:5], v[82:83], v[90:91], v[4:5]
	v_fma_f64 v[6:7], v[84:85], v[90:91], -v[6:7]
	;; [unrolled: 2-line block ×4, first 2 shown]
	s_waitcnt vmcnt(5)
	v_mul_f64 v[16:17], v[108:109], v[116:117]
	v_mul_f64 v[18:19], v[106:107], v[116:117]
	s_waitcnt vmcnt(4)
	v_mul_f64 v[20:21], v[112:113], v[120:121]
	v_mul_f64 v[22:23], v[110:111], v[120:121]
	;; [unrolled: 3-line block ×4, first 2 shown]
	v_fma_f64 v[16:17], v[106:107], v[114:115], v[16:17]
	v_fma_f64 v[18:19], v[108:109], v[114:115], -v[18:19]
	v_fma_f64 v[20:21], v[110:111], v[118:119], v[20:21]
	v_fma_f64 v[22:23], v[112:113], v[118:119], -v[22:23]
	;; [unrolled: 2-line block ×4, first 2 shown]
	ds_write_b128 v38, v[0:3] offset:5760
	ds_write_b128 v38, v[4:7] offset:6400
	;; [unrolled: 1-line block ×8, first 2 shown]
.LBB0_3:
	s_or_b64 exec, exec, s[6:7]
	buffer_store_dword v148, off, s[64:67], 0 ; 4-byte Folded Spill
	s_waitcnt vmcnt(0) lgkmcnt(0)
	s_barrier
	s_waitcnt lgkmcnt(0)
                                        ; implicit-def: $vgpr20_vgpr21
                                        ; implicit-def: $vgpr68_vgpr69
                                        ; implicit-def: $vgpr72_vgpr73
                                        ; implicit-def: $vgpr24_vgpr25
                                        ; implicit-def: $vgpr28_vgpr29
                                        ; implicit-def: $vgpr32_vgpr33
                                        ; implicit-def: $vgpr36_vgpr37
                                        ; implicit-def: $vgpr48_vgpr49
                                        ; implicit-def: $vgpr56_vgpr57
                                        ; implicit-def: $vgpr60_vgpr61
                                        ; implicit-def: $vgpr64_vgpr65
                                        ; implicit-def: $vgpr44_vgpr45
                                        ; implicit-def: $vgpr40_vgpr41
                                        ; implicit-def: $vgpr52_vgpr53
                                        ; implicit-def: $vgpr84_vgpr85
                                        ; implicit-def: $vgpr80_vgpr81
                                        ; implicit-def: $vgpr76_vgpr77
	s_and_saveexec_b64 s[0:1], vcc
	s_cbranch_execz .LBB0_5
; %bb.4:
	buffer_load_dword v0, off, s[64:67], 0 offset:8 ; 4-byte Folded Reload
	s_waitcnt vmcnt(0)
	v_lshl_add_u32 v0, v235, 4, v0
	ds_read_b128 v[20:23], v0
	ds_read_b128 v[76:79], v0 offset:640
	ds_read_b128 v[80:83], v0 offset:1280
	;; [unrolled: 1-line block ×16, first 2 shown]
.LBB0_5:
	s_or_b64 exec, exec, s[0:1]
	s_waitcnt lgkmcnt(0)
	v_add_f64 v[2:3], v[78:79], -v[66:67]
	s_mov_b32 s36, 0x5d8e7cdc
	s_mov_b32 s37, 0xbfd71e95
	v_add_f64 v[0:1], v[76:77], -v[64:65]
	v_add_f64 v[106:107], v[82:83], -v[62:63]
	s_mov_b32 s46, 0x2a9d6da3
	s_mov_b32 s38, 0x7c9e640b
	;; [unrolled: 1-line block ×3, first 2 shown]
	v_mul_f64 v[4:5], v[2:3], s[36:37]
	s_mov_b32 s24, 0x923c349f
	s_mov_b32 s26, 0x6c9a05f6
	;; [unrolled: 1-line block ×9, first 2 shown]
	s_load_dwordx2 s[6:7], s[4:5], 0x20
	s_load_dwordx2 s[2:3], s[4:5], 0x8
	v_mul_f64 v[6:7], v[0:1], s[36:37]
	buffer_store_dword v4, off, s[64:67], 0 offset:12 ; 4-byte Folded Spill
	s_nop 0
	buffer_store_dword v5, off, s[64:67], 0 offset:16 ; 4-byte Folded Spill
	v_mul_f64 v[8:9], v[2:3], s[46:47]
	v_mul_f64 v[10:11], v[0:1], s[46:47]
	;; [unrolled: 1-line block ×12, first 2 shown]
	v_add_f64 v[104:105], v[80:81], -v[60:61]
	v_mul_f64 v[108:109], v[106:107], s[46:47]
	buffer_store_dword v6, off, s[64:67], 0 offset:28 ; 4-byte Folded Spill
	s_nop 0
	buffer_store_dword v7, off, s[64:67], 0 offset:32 ; 4-byte Folded Spill
	buffer_store_dword v8, off, s[64:67], 0 offset:44 ; 4-byte Folded Spill
	s_nop 0
	buffer_store_dword v9, off, s[64:67], 0 offset:48 ; 4-byte Folded Spill
	buffer_store_dword v10, off, s[64:67], 0 offset:60 ; 4-byte Folded Spill
	s_nop 0
	buffer_store_dword v11, off, s[64:67], 0 offset:64 ; 4-byte Folded Spill
	buffer_store_dword v12, off, s[64:67], 0 offset:76 ; 4-byte Folded Spill
	s_nop 0
	buffer_store_dword v13, off, s[64:67], 0 offset:80 ; 4-byte Folded Spill
	buffer_store_dword v14, off, s[64:67], 0 offset:92 ; 4-byte Folded Spill
	s_nop 0
	buffer_store_dword v15, off, s[64:67], 0 offset:96 ; 4-byte Folded Spill
	buffer_store_dword v16, off, s[64:67], 0 offset:100 ; 4-byte Folded Spill
	s_nop 0
	buffer_store_dword v17, off, s[64:67], 0 offset:104 ; 4-byte Folded Spill
	buffer_store_dword v18, off, s[64:67], 0 offset:116 ; 4-byte Folded Spill
	s_nop 0
	buffer_store_dword v19, off, s[64:67], 0 offset:120 ; 4-byte Folded Spill
	buffer_store_dword v88, off, s[64:67], 0 offset:132 ; 4-byte Folded Spill
	s_nop 0
	buffer_store_dword v89, off, s[64:67], 0 offset:136 ; 4-byte Folded Spill
	buffer_store_dword v90, off, s[64:67], 0 offset:156 ; 4-byte Folded Spill
	s_nop 0
	buffer_store_dword v91, off, s[64:67], 0 offset:160 ; 4-byte Folded Spill
	buffer_store_dword v92, off, s[64:67], 0 offset:172 ; 4-byte Folded Spill
	s_nop 0
	buffer_store_dword v93, off, s[64:67], 0 offset:176 ; 4-byte Folded Spill
	buffer_store_dword v94, off, s[64:67], 0 offset:180 ; 4-byte Folded Spill
	s_nop 0
	buffer_store_dword v95, off, s[64:67], 0 offset:184 ; 4-byte Folded Spill
	buffer_store_dword v96, off, s[64:67], 0 offset:188 ; 4-byte Folded Spill
	s_nop 0
	buffer_store_dword v97, off, s[64:67], 0 offset:192 ; 4-byte Folded Spill
	buffer_store_dword v98, off, s[64:67], 0 offset:196 ; 4-byte Folded Spill
	s_nop 0
	buffer_store_dword v99, off, s[64:67], 0 offset:200 ; 4-byte Folded Spill
	v_mul_f64 v[114:115], v[104:105], s[46:47]
	buffer_store_dword v108, off, s[64:67], 0 offset:140 ; 4-byte Folded Spill
	s_nop 0
	buffer_store_dword v109, off, s[64:67], 0 offset:144 ; 4-byte Folded Spill
	buffer_store_dword v114, off, s[64:67], 0 offset:148 ; 4-byte Folded Spill
	s_nop 0
	buffer_store_dword v115, off, s[64:67], 0 offset:152 ; 4-byte Folded Spill
	v_add_f64 v[110:111], v[64:65], v[76:77]
	s_mov_b32 s0, 0x370991
	s_mov_b32 s1, 0x3fedd6d0
	v_add_f64 v[112:113], v[66:67], v[78:79]
	v_add_f64 v[120:121], v[60:61], v[80:81]
	s_mov_b32 s20, 0x75d4884
	s_mov_b32 s21, 0x3fe7a5f6
	v_add_f64 v[122:123], v[62:63], v[82:83]
	s_mov_b32 s8, 0x3259b75e
	s_mov_b32 s9, 0x3fb79ee6
                                        ; kill: killed $sgpr4_sgpr5
	s_mov_b32 s4, 0x2b2883cd
	s_mov_b32 s5, 0x3fdc86fa
	;; [unrolled: 1-line block ×18, first 2 shown]
	v_mul_f64 v[2:3], v[2:3], s[34:35]
	s_mov_b32 s45, 0x3fd71e95
	s_mov_b32 s44, s36
	v_mul_f64 v[0:1], v[0:1], s[34:35]
	v_add_f64 v[152:153], v[68:69], v[56:57]
	v_add_f64 v[154:155], v[70:71], v[58:59]
	s_mov_b32 s43, 0x3fc7851a
	s_mov_b32 s42, s34
	v_fma_f64 v[100:101], v[110:111], s[18:19], -v[2:3]
	v_fma_f64 v[2:3], v[110:111], s[18:19], v[2:3]
	v_add_f64 v[183:184], v[72:73], v[48:49]
	v_fma_f64 v[102:103], v[112:113], s[18:19], v[0:1]
	v_fma_f64 v[0:1], v[112:113], s[18:19], -v[0:1]
	v_add_f64 v[185:186], v[74:75], v[50:51]
	v_fma_f64 v[4:5], v[110:111], s[0:1], v[4:5]
	s_mov_b32 s53, 0x3fe9895b
	v_add_f64 v[100:101], v[20:21], v[100:101]
	v_add_f64 v[2:3], v[20:21], v[2:3]
	s_mov_b32 s52, s26
	v_add_f64 v[102:103], v[22:23], v[102:103]
	v_add_f64 v[0:1], v[22:23], v[0:1]
	v_add_f64 v[124:125], v[86:87], -v[38:39]
	v_add_f64 v[4:5], v[20:21], v[4:5]
	v_add_f64 v[215:216], v[36:37], v[84:85]
	;; [unrolled: 1-line block ×3, first 2 shown]
	v_add_f64 v[138:139], v[54:55], -v[34:35]
	v_add_f64 v[241:242], v[32:33], v[52:53]
	v_add_f64 v[134:135], v[52:53], -v[32:33]
	v_add_f64 v[243:244], v[34:35], v[54:55]
	v_fma_f64 v[6:7], v[112:113], s[0:1], -v[6:7]
	v_fma_f64 v[8:9], v[110:111], s[20:21], v[8:9]
	v_fma_f64 v[10:11], v[112:113], s[20:21], -v[10:11]
	v_fma_f64 v[12:13], v[110:111], s[4:5], v[12:13]
	;; [unrolled: 2-line block ×4, first 2 shown]
	v_add_f64 v[6:7], v[22:23], v[6:7]
	v_add_f64 v[8:9], v[20:21], v[8:9]
	v_add_f64 v[10:11], v[22:23], v[10:11]
	v_add_f64 v[12:13], v[20:21], v[12:13]
	v_add_f64 v[14:15], v[22:23], v[14:15]
	v_add_f64 v[16:17], v[20:21], v[16:17]
	v_fma_f64 v[108:109], v[120:121], s[20:21], v[108:109]
	v_add_f64 v[18:19], v[22:23], v[18:19]
	v_add_f64 v[88:89], v[20:21], v[88:89]
	v_fma_f64 v[90:91], v[112:113], s[16:17], -v[90:91]
	v_fma_f64 v[92:93], v[110:111], s[22:23], v[92:93]
	v_fma_f64 v[94:95], v[112:113], s[22:23], -v[94:95]
	v_fma_f64 v[96:97], v[110:111], s[10:11], v[96:97]
	v_fma_f64 v[98:99], v[112:113], s[10:11], -v[98:99]
	v_add_f64 v[4:5], v[108:109], v[4:5]
	v_fma_f64 v[108:109], v[122:123], s[20:21], -v[114:115]
	v_mul_f64 v[114:115], v[104:105], s[40:41]
	v_add_f64 v[90:91], v[22:23], v[90:91]
	v_add_f64 v[92:93], v[20:21], v[92:93]
	;; [unrolled: 1-line block ×5, first 2 shown]
	v_mul_f64 v[136:137], v[124:125], s[36:37]
	v_add_f64 v[6:7], v[108:109], v[6:7]
	v_mul_f64 v[108:109], v[106:107], s[40:41]
	buffer_store_dword v108, off, s[64:67], 0 offset:164 ; 4-byte Folded Spill
	s_nop 0
	buffer_store_dword v109, off, s[64:67], 0 offset:168 ; 4-byte Folded Spill
	buffer_store_dword v114, off, s[64:67], 0 offset:204 ; 4-byte Folded Spill
	s_nop 0
	buffer_store_dword v115, off, s[64:67], 0 offset:208 ; 4-byte Folded Spill
	v_mul_f64 v[253:254], v[134:135], s[26:27]
	v_mul_f64 v[146:147], v[134:135], s[36:37]
	;; [unrolled: 1-line block ×8, first 2 shown]
	v_add_f64 v[177:178], v[26:27], -v[46:47]
	v_add_f64 v[166:167], v[24:25], -v[44:45]
	;; [unrolled: 1-line block ×4, first 2 shown]
	v_mul_f64 v[181:182], v[177:178], s[52:53]
	v_mul_f64 v[148:149], v[166:167], s[28:29]
	;; [unrolled: 1-line block ×16, first 2 shown]
	v_fma_f64 v[108:109], v[120:121], s[8:9], v[108:109]
	v_add_f64 v[8:9], v[108:109], v[8:9]
	v_fma_f64 v[108:109], v[122:123], s[8:9], -v[114:115]
	v_mul_f64 v[114:115], v[104:105], s[26:27]
	v_add_f64 v[10:11], v[108:109], v[10:11]
	v_mul_f64 v[108:109], v[106:107], s[26:27]
	buffer_store_dword v108, off, s[64:67], 0 offset:212 ; 4-byte Folded Spill
	s_nop 0
	buffer_store_dword v109, off, s[64:67], 0 offset:216 ; 4-byte Folded Spill
	buffer_store_dword v114, off, s[64:67], 0 offset:228 ; 4-byte Folded Spill
	s_nop 0
	buffer_store_dword v115, off, s[64:67], 0 offset:232 ; 4-byte Folded Spill
	v_fma_f64 v[108:109], v[120:121], s[22:23], v[108:109]
	v_add_f64 v[12:13], v[108:109], v[12:13]
	v_fma_f64 v[108:109], v[122:123], s[22:23], -v[114:115]
	v_mul_f64 v[114:115], v[104:105], s[34:35]
	v_add_f64 v[14:15], v[108:109], v[14:15]
	v_mul_f64 v[108:109], v[106:107], s[34:35]
	buffer_store_dword v108, off, s[64:67], 0 offset:236 ; 4-byte Folded Spill
	s_nop 0
	buffer_store_dword v109, off, s[64:67], 0 offset:240 ; 4-byte Folded Spill
	buffer_store_dword v114, off, s[64:67], 0 offset:276 ; 4-byte Folded Spill
	s_nop 0
	buffer_store_dword v115, off, s[64:67], 0 offset:280 ; 4-byte Folded Spill
	;; [unrolled: 12-line block ×4, first 2 shown]
	v_fma_f64 v[108:109], v[120:121], s[16:17], v[108:109]
	v_add_f64 v[92:93], v[108:109], v[92:93]
	v_fma_f64 v[108:109], v[122:123], s[16:17], -v[114:115]
	v_mul_f64 v[114:115], v[104:105], s[28:29]
	v_mul_f64 v[104:105], v[104:105], s[44:45]
	v_add_f64 v[94:95], v[108:109], v[94:95]
	v_mul_f64 v[108:109], v[106:107], s[28:29]
	buffer_store_dword v108, off, s[64:67], 0 offset:356 ; 4-byte Folded Spill
	s_nop 0
	buffer_store_dword v109, off, s[64:67], 0 offset:360 ; 4-byte Folded Spill
	buffer_store_dword v114, off, s[64:67], 0 offset:364 ; 4-byte Folded Spill
	s_nop 0
	buffer_store_dword v115, off, s[64:67], 0 offset:368 ; 4-byte Folded Spill
	v_mul_f64 v[106:107], v[106:107], s[44:45]
	v_fma_f64 v[108:109], v[120:121], s[4:5], v[108:109]
	v_add_f64 v[96:97], v[108:109], v[96:97]
	v_fma_f64 v[108:109], v[122:123], s[4:5], -v[114:115]
	v_add_f64 v[98:99], v[108:109], v[98:99]
	v_fma_f64 v[108:109], v[120:121], s[0:1], -v[106:107]
	v_fma_f64 v[106:107], v[120:121], s[0:1], v[106:107]
	v_add_f64 v[100:101], v[108:109], v[100:101]
	v_fma_f64 v[108:109], v[122:123], s[0:1], v[104:105]
	v_add_f64 v[2:3], v[106:107], v[2:3]
	v_fma_f64 v[104:105], v[122:123], s[0:1], -v[104:105]
	v_add_f64 v[106:107], v[70:71], -v[58:59]
	v_add_f64 v[102:103], v[108:109], v[102:103]
	v_add_f64 v[0:1], v[104:105], v[0:1]
	v_add_f64 v[104:105], v[68:69], -v[56:57]
	v_mul_f64 v[108:109], v[106:107], s[38:39]
	buffer_store_dword v108, off, s[64:67], 0 offset:252 ; 4-byte Folded Spill
	s_nop 0
	buffer_store_dword v109, off, s[64:67], 0 offset:256 ; 4-byte Folded Spill
	v_mul_f64 v[114:115], v[104:105], s[38:39]
	buffer_store_dword v114, off, s[64:67], 0 offset:268 ; 4-byte Folded Spill
	s_nop 0
	buffer_store_dword v115, off, s[64:67], 0 offset:272 ; 4-byte Folded Spill
	v_fma_f64 v[108:109], v[152:153], s[4:5], v[108:109]
	v_add_f64 v[4:5], v[108:109], v[4:5]
	v_fma_f64 v[108:109], v[154:155], s[4:5], -v[114:115]
	v_mul_f64 v[114:115], v[104:105], s[26:27]
	v_add_f64 v[6:7], v[108:109], v[6:7]
	v_mul_f64 v[108:109], v[106:107], s[26:27]
	buffer_store_dword v108, off, s[64:67], 0 offset:284 ; 4-byte Folded Spill
	s_nop 0
	buffer_store_dword v109, off, s[64:67], 0 offset:288 ; 4-byte Folded Spill
	buffer_store_dword v114, off, s[64:67], 0 offset:332 ; 4-byte Folded Spill
	s_nop 0
	buffer_store_dword v115, off, s[64:67], 0 offset:336 ; 4-byte Folded Spill
	v_fma_f64 v[108:109], v[152:153], s[22:23], v[108:109]
	v_add_f64 v[8:9], v[108:109], v[8:9]
	v_fma_f64 v[108:109], v[154:155], s[22:23], -v[114:115]
	v_mul_f64 v[114:115], v[104:105], s[42:43]
	v_add_f64 v[10:11], v[108:109], v[10:11]
	v_mul_f64 v[108:109], v[106:107], s[42:43]
	buffer_store_dword v108, off, s[64:67], 0 offset:348 ; 4-byte Folded Spill
	s_nop 0
	buffer_store_dword v109, off, s[64:67], 0 offset:352 ; 4-byte Folded Spill
	buffer_store_dword v114, off, s[64:67], 0 offset:372 ; 4-byte Folded Spill
	s_nop 0
	buffer_store_dword v115, off, s[64:67], 0 offset:376 ; 4-byte Folded Spill
	s_mov_b32 s43, 0x3fe58eea
	s_mov_b32 s42, s46
	v_mul_f64 v[203:204], v[177:178], s[42:43]
	v_mul_f64 v[205:206], v[166:167], s[42:43]
	v_fma_f64 v[108:109], v[152:153], s[18:19], v[108:109]
	v_add_f64 v[12:13], v[108:109], v[12:13]
	v_fma_f64 v[108:109], v[154:155], s[18:19], -v[114:115]
	v_mul_f64 v[114:115], v[104:105], s[48:49]
	v_add_f64 v[14:15], v[108:109], v[14:15]
	v_mul_f64 v[108:109], v[106:107], s[48:49]
	buffer_store_dword v108, off, s[64:67], 0 offset:396 ; 4-byte Folded Spill
	s_nop 0
	buffer_store_dword v109, off, s[64:67], 0 offset:400 ; 4-byte Folded Spill
	buffer_store_dword v114, off, s[64:67], 0 offset:412 ; 4-byte Folded Spill
	s_nop 0
	buffer_store_dword v115, off, s[64:67], 0 offset:416 ; 4-byte Folded Spill
	v_fma_f64 v[108:109], v[152:153], s[16:17], v[108:109]
	v_add_f64 v[16:17], v[108:109], v[16:17]
	v_fma_f64 v[108:109], v[154:155], s[16:17], -v[114:115]
	v_mul_f64 v[114:115], v[104:105], s[42:43]
	v_add_f64 v[18:19], v[108:109], v[18:19]
	v_mul_f64 v[108:109], v[106:107], s[42:43]
	buffer_store_dword v108, off, s[64:67], 0 offset:420 ; 4-byte Folded Spill
	s_nop 0
	buffer_store_dword v109, off, s[64:67], 0 offset:424 ; 4-byte Folded Spill
	buffer_store_dword v114, off, s[64:67], 0 offset:428 ; 4-byte Folded Spill
	s_nop 0
	buffer_store_dword v115, off, s[64:67], 0 offset:432 ; 4-byte Folded Spill
	;; [unrolled: 12-line block ×3, first 2 shown]
	v_fma_f64 v[108:109], v[152:153], s[0:1], v[108:109]
	v_add_f64 v[92:93], v[108:109], v[92:93]
	v_fma_f64 v[108:109], v[154:155], s[0:1], -v[114:115]
	v_mul_f64 v[114:115], v[104:105], s[40:41]
	v_mul_f64 v[104:105], v[104:105], s[30:31]
	v_add_f64 v[94:95], v[108:109], v[94:95]
	v_mul_f64 v[108:109], v[106:107], s[40:41]
	buffer_store_dword v108, off, s[64:67], 0 offset:460 ; 4-byte Folded Spill
	s_nop 0
	buffer_store_dword v109, off, s[64:67], 0 offset:464 ; 4-byte Folded Spill
	buffer_store_dword v114, off, s[64:67], 0 offset:468 ; 4-byte Folded Spill
	s_nop 0
	buffer_store_dword v115, off, s[64:67], 0 offset:472 ; 4-byte Folded Spill
	v_mul_f64 v[106:107], v[106:107], s[30:31]
	v_fma_f64 v[108:109], v[152:153], s[8:9], v[108:109]
	v_add_f64 v[96:97], v[108:109], v[96:97]
	v_fma_f64 v[108:109], v[154:155], s[8:9], -v[114:115]
	v_add_f64 v[98:99], v[108:109], v[98:99]
	v_fma_f64 v[108:109], v[152:153], s[10:11], -v[106:107]
	v_fma_f64 v[106:107], v[152:153], s[10:11], v[106:107]
	v_add_f64 v[100:101], v[108:109], v[100:101]
	v_fma_f64 v[108:109], v[154:155], s[10:11], v[104:105]
	v_fma_f64 v[104:105], v[154:155], s[10:11], -v[104:105]
	v_add_f64 v[2:3], v[106:107], v[2:3]
	v_add_f64 v[106:107], v[72:73], -v[48:49]
	v_add_f64 v[102:103], v[108:109], v[102:103]
	v_add_f64 v[108:109], v[74:75], -v[50:51]
	v_add_f64 v[104:105], v[104:105], v[0:1]
	v_mul_f64 v[114:115], v[106:107], s[40:41]
	v_mul_f64 v[116:117], v[106:107], s[38:39]
	;; [unrolled: 1-line block ×3, first 2 shown]
	buffer_store_dword v0, off, s[64:67], 0 offset:380 ; 4-byte Folded Spill
	s_nop 0
	buffer_store_dword v1, off, s[64:67], 0 offset:384 ; 4-byte Folded Spill
	buffer_store_dword v114, off, s[64:67], 0 offset:388 ; 4-byte Folded Spill
	s_nop 0
	buffer_store_dword v115, off, s[64:67], 0 offset:392 ; 4-byte Folded Spill
	v_fma_f64 v[0:1], v[183:184], s[8:9], v[0:1]
	v_add_f64 v[4:5], v[0:1], v[4:5]
	v_fma_f64 v[0:1], v[185:186], s[8:9], -v[114:115]
	v_mul_f64 v[114:115], v[106:107], s[34:35]
	v_add_f64 v[6:7], v[0:1], v[6:7]
	v_mul_f64 v[0:1], v[108:109], s[34:35]
	buffer_store_dword v0, off, s[64:67], 0 offset:404 ; 4-byte Folded Spill
	s_nop 0
	buffer_store_dword v1, off, s[64:67], 0 offset:408 ; 4-byte Folded Spill
	buffer_store_dword v114, off, s[64:67], 0 offset:444 ; 4-byte Folded Spill
	s_nop 0
	buffer_store_dword v115, off, s[64:67], 0 offset:448 ; 4-byte Folded Spill
	v_fma_f64 v[0:1], v[183:184], s[18:19], v[0:1]
	v_add_f64 v[8:9], v[0:1], v[8:9]
	v_fma_f64 v[0:1], v[185:186], s[18:19], -v[114:115]
	v_mul_f64 v[114:115], v[106:107], s[48:49]
	v_add_f64 v[10:11], v[0:1], v[10:11]
	v_mul_f64 v[0:1], v[108:109], s[48:49]
	;; [unrolled: 12-line block ×3, first 2 shown]
	buffer_store_dword v0, off, s[64:67], 0 offset:516 ; 4-byte Folded Spill
	s_nop 0
	buffer_store_dword v1, off, s[64:67], 0 offset:520 ; 4-byte Folded Spill
	buffer_store_dword v114, off, s[64:67], 0 offset:524 ; 4-byte Folded Spill
	s_nop 0
	buffer_store_dword v115, off, s[64:67], 0 offset:528 ; 4-byte Folded Spill
	v_fma_f64 v[0:1], v[183:184], s[0:1], v[0:1]
	v_add_f64 v[16:17], v[0:1], v[16:17]
	v_fma_f64 v[0:1], v[185:186], s[0:1], -v[114:115]
	v_add_f64 v[18:19], v[0:1], v[18:19]
	v_mul_f64 v[0:1], v[108:109], s[38:39]
	buffer_store_dword v0, off, s[64:67], 0 offset:532 ; 4-byte Folded Spill
	s_nop 0
	buffer_store_dword v1, off, s[64:67], 0 offset:536 ; 4-byte Folded Spill
	buffer_store_dword v116, off, s[64:67], 0 offset:548 ; 4-byte Folded Spill
	s_nop 0
	buffer_store_dword v117, off, s[64:67], 0 offset:552 ; 4-byte Folded Spill
	v_fma_f64 v[114:115], v[183:184], s[4:5], v[0:1]
	v_mul_f64 v[0:1], v[108:109], s[30:31]
	buffer_store_dword v0, off, s[64:67], 0 offset:556 ; 4-byte Folded Spill
	s_nop 0
	buffer_store_dword v1, off, s[64:67], 0 offset:560 ; 4-byte Folded Spill
	v_add_f64 v[88:89], v[114:115], v[88:89]
	v_fma_f64 v[114:115], v[185:186], s[4:5], -v[116:117]
	v_mul_f64 v[116:117], v[106:107], s[30:31]
	buffer_store_dword v116, off, s[64:67], 0 offset:564 ; 4-byte Folded Spill
	s_nop 0
	buffer_store_dword v117, off, s[64:67], 0 offset:568 ; 4-byte Folded Spill
	v_add_f64 v[90:91], v[114:115], v[90:91]
	v_fma_f64 v[114:115], v[183:184], s[10:11], v[0:1]
	v_mul_f64 v[0:1], v[106:107], s[52:53]
	v_mul_f64 v[106:107], v[106:107], s[42:43]
	v_add_f64 v[92:93], v[114:115], v[92:93]
	v_fma_f64 v[114:115], v[185:186], s[10:11], -v[116:117]
	v_add_f64 v[116:117], v[84:85], -v[36:37]
	v_add_f64 v[94:95], v[114:115], v[94:95]
	v_mul_f64 v[114:115], v[108:109], s[52:53]
	buffer_store_dword v114, off, s[64:67], 0 offset:580 ; 4-byte Folded Spill
	s_nop 0
	buffer_store_dword v115, off, s[64:67], 0 offset:584 ; 4-byte Folded Spill
	v_mul_f64 v[108:109], v[108:109], s[42:43]
	v_mul_f64 v[126:127], v[116:117], s[34:35]
	;; [unrolled: 1-line block ×3, first 2 shown]
	v_fma_f64 v[114:115], v[183:184], s[22:23], v[114:115]
	v_add_f64 v[96:97], v[114:115], v[96:97]
	v_fma_f64 v[114:115], v[185:186], s[22:23], -v[0:1]
	v_add_f64 v[98:99], v[114:115], v[98:99]
	v_fma_f64 v[114:115], v[183:184], s[20:21], -v[108:109]
	v_fma_f64 v[108:109], v[183:184], s[20:21], v[108:109]
	v_add_f64 v[100:101], v[114:115], v[100:101]
	v_fma_f64 v[114:115], v[185:186], s[20:21], v[106:107]
	v_fma_f64 v[106:107], v[185:186], s[20:21], -v[106:107]
	v_add_f64 v[2:3], v[108:109], v[2:3]
	v_mul_f64 v[108:109], v[116:117], s[24:25]
	v_add_f64 v[102:103], v[114:115], v[102:103]
	v_add_f64 v[106:107], v[106:107], v[104:105]
	v_mul_f64 v[104:105], v[124:125], s[24:25]
	buffer_store_dword v104, off, s[64:67], 0 offset:484 ; 4-byte Folded Spill
	s_nop 0
	buffer_store_dword v105, off, s[64:67], 0 offset:488 ; 4-byte Folded Spill
	buffer_store_dword v108, off, s[64:67], 0 offset:492 ; 4-byte Folded Spill
	s_nop 0
	buffer_store_dword v109, off, s[64:67], 0 offset:496 ; 4-byte Folded Spill
	v_mul_f64 v[114:115], v[116:117], s[38:39]
	v_fma_f64 v[104:105], v[215:216], s[16:17], v[104:105]
	v_add_f64 v[4:5], v[104:105], v[4:5]
	v_fma_f64 v[104:105], v[217:218], s[16:17], -v[108:109]
	v_mul_f64 v[108:109], v[116:117], s[50:51]
	v_add_f64 v[6:7], v[104:105], v[6:7]
	v_mul_f64 v[104:105], v[124:125], s[50:51]
	buffer_store_dword v104, off, s[64:67], 0 offset:508 ; 4-byte Folded Spill
	s_nop 0
	buffer_store_dword v105, off, s[64:67], 0 offset:512 ; 4-byte Folded Spill
	buffer_store_dword v108, off, s[64:67], 0 offset:540 ; 4-byte Folded Spill
	s_nop 0
	buffer_store_dword v109, off, s[64:67], 0 offset:544 ; 4-byte Folded Spill
	v_fma_f64 v[104:105], v[215:216], s[10:11], v[104:105]
	v_add_f64 v[8:9], v[104:105], v[8:9]
	v_fma_f64 v[104:105], v[217:218], s[10:11], -v[108:109]
	v_mul_f64 v[108:109], v[124:125], s[42:43]
	buffer_store_dword v108, off, s[64:67], 0 offset:572 ; 4-byte Folded Spill
	s_nop 0
	buffer_store_dword v109, off, s[64:67], 0 offset:576 ; 4-byte Folded Spill
	v_add_f64 v[10:11], v[104:105], v[10:11]
	v_mul_f64 v[104:105], v[116:117], s[42:43]
	v_fma_f64 v[108:109], v[215:216], s[20:21], v[108:109]
	v_add_f64 v[12:13], v[108:109], v[12:13]
	v_fma_f64 v[108:109], v[217:218], s[20:21], -v[104:105]
	v_add_f64 v[14:15], v[108:109], v[14:15]
	v_mul_f64 v[108:109], v[124:125], s[38:39]
	s_mov_b32 s39, 0x3fefdd0d
	s_mov_b32 s38, s40
	v_mul_f64 v[130:131], v[116:117], s[38:39]
	v_mul_f64 v[116:117], v[116:117], s[26:27]
	;; [unrolled: 1-line block ×4, first 2 shown]
	v_fma_f64 v[118:119], v[215:216], s[4:5], v[108:109]
	v_add_f64 v[16:17], v[118:119], v[16:17]
	v_fma_f64 v[118:119], v[217:218], s[4:5], -v[114:115]
	v_add_f64 v[18:19], v[118:119], v[18:19]
	v_mul_f64 v[118:119], v[124:125], s[34:35]
	v_fma_f64 v[128:129], v[215:216], s[18:19], v[118:119]
	v_add_f64 v[88:89], v[128:129], v[88:89]
	v_fma_f64 v[128:129], v[217:218], s[18:19], -v[126:127]
	v_add_f64 v[90:91], v[128:129], v[90:91]
	v_mul_f64 v[128:129], v[124:125], s[38:39]
	v_mul_f64 v[124:125], v[124:125], s[26:27]
	v_fma_f64 v[132:133], v[215:216], s[8:9], v[128:129]
	v_add_f64 v[92:93], v[132:133], v[92:93]
	v_fma_f64 v[132:133], v[217:218], s[8:9], -v[130:131]
	v_add_f64 v[94:95], v[132:133], v[94:95]
	v_fma_f64 v[132:133], v[215:216], s[0:1], v[136:137]
	v_add_f64 v[96:97], v[132:133], v[96:97]
	v_fma_f64 v[132:133], v[217:218], s[0:1], -v[140:141]
	v_add_f64 v[98:99], v[132:133], v[98:99]
	v_fma_f64 v[132:133], v[215:216], s[22:23], -v[124:125]
	v_fma_f64 v[124:125], v[215:216], s[22:23], v[124:125]
	v_add_f64 v[100:101], v[132:133], v[100:101]
	v_fma_f64 v[132:133], v[217:218], s[22:23], v[116:117]
	v_fma_f64 v[116:117], v[217:218], s[22:23], -v[116:117]
	v_add_f64 v[2:3], v[124:125], v[2:3]
	v_mul_f64 v[124:125], v[134:135], s[48:49]
	v_mul_f64 v[134:135], v[134:135], s[28:29]
	v_add_f64 v[102:103], v[132:133], v[102:103]
	v_add_f64 v[132:133], v[116:117], v[106:107]
	v_mul_f64 v[106:107], v[138:139], s[26:27]
	buffer_store_dword v106, off, s[64:67], 0 offset:588 ; 4-byte Folded Spill
	s_nop 0
	buffer_store_dword v107, off, s[64:67], 0 offset:592 ; 4-byte Folded Spill
	s_waitcnt vmcnt(0) lgkmcnt(0)
	s_barrier
	v_fma_f64 v[106:107], v[241:242], s[22:23], v[106:107]
	v_add_f64 v[4:5], v[106:107], v[4:5]
	v_fma_f64 v[106:107], v[243:244], s[22:23], -v[253:254]
	v_add_f64 v[6:7], v[106:107], v[6:7]
	v_mul_f64 v[106:107], v[138:139], s[48:49]
	v_fma_f64 v[116:117], v[241:242], s[16:17], v[106:107]
	v_add_f64 v[8:9], v[116:117], v[8:9]
	v_fma_f64 v[116:117], v[243:244], s[16:17], -v[124:125]
	v_add_f64 v[10:11], v[116:117], v[10:11]
	v_mul_f64 v[116:117], v[138:139], s[36:37]
	v_mul_f64 v[138:139], v[138:139], s[28:29]
	v_fma_f64 v[142:143], v[241:242], s[0:1], v[116:117]
	v_add_f64 v[12:13], v[142:143], v[12:13]
	v_fma_f64 v[142:143], v[243:244], s[0:1], -v[146:147]
	v_add_f64 v[14:15], v[142:143], v[14:15]
	v_fma_f64 v[142:143], v[241:242], s[10:11], v[156:157]
	v_add_f64 v[16:17], v[142:143], v[16:17]
	v_fma_f64 v[142:143], v[243:244], s[10:11], -v[158:159]
	v_add_f64 v[18:19], v[142:143], v[18:19]
	;; [unrolled: 4-line block ×5, first 2 shown]
	v_fma_f64 v[142:143], v[241:242], s[4:5], -v[138:139]
	v_fma_f64 v[138:139], v[241:242], s[4:5], v[138:139]
	v_add_f64 v[100:101], v[142:143], v[100:101]
	v_fma_f64 v[142:143], v[243:244], s[4:5], v[134:135]
	v_fma_f64 v[134:135], v[243:244], s[4:5], -v[134:135]
	v_add_f64 v[2:3], v[138:139], v[2:3]
	v_mul_f64 v[138:139], v[177:178], s[30:31]
	v_add_f64 v[102:103], v[142:143], v[102:103]
	v_add_f64 v[164:165], v[134:135], v[132:133]
	;; [unrolled: 1-line block ×4, first 2 shown]
	v_mul_f64 v[142:143], v[166:167], s[30:31]
	v_mul_f64 v[166:167], v[166:167], s[24:25]
	v_fma_f64 v[144:145], v[132:133], s[10:11], v[138:139]
	v_add_f64 v[4:5], v[144:145], v[4:5]
	v_fma_f64 v[144:145], v[134:135], s[10:11], -v[142:143]
	v_add_f64 v[6:7], v[144:145], v[6:7]
	v_mul_f64 v[144:145], v[177:178], s[28:29]
	v_fma_f64 v[150:151], v[132:133], s[4:5], v[144:145]
	v_add_f64 v[8:9], v[150:151], v[8:9]
	v_fma_f64 v[150:151], v[134:135], s[4:5], -v[148:149]
	v_add_f64 v[10:11], v[150:151], v[10:11]
	v_mul_f64 v[150:151], v[177:178], s[40:41]
	v_mul_f64 v[177:178], v[177:178], s[24:25]
	v_fma_f64 v[179:180], v[132:133], s[8:9], v[150:151]
	v_add_f64 v[211:212], v[179:180], v[12:13]
	v_fma_f64 v[12:13], v[134:135], s[8:9], -v[172:173]
	v_mul_f64 v[179:180], v[219:220], s[34:35]
	v_add_f64 v[213:214], v[12:13], v[14:15]
	v_fma_f64 v[12:13], v[132:133], s[22:23], v[181:182]
	v_fma_f64 v[14:15], v[134:135], s[22:23], -v[189:190]
	v_add_f64 v[12:13], v[12:13], v[16:17]
	v_fma_f64 v[16:17], v[132:133], s[0:1], v[191:192]
	v_add_f64 v[14:15], v[14:15], v[18:19]
	v_fma_f64 v[18:19], v[134:135], s[0:1], -v[193:194]
	v_add_f64 v[16:17], v[16:17], v[88:89]
	v_fma_f64 v[88:89], v[132:133], s[18:19], v[197:198]
	v_add_f64 v[18:19], v[18:19], v[90:91]
	;; [unrolled: 4-line block ×3, first 2 shown]
	v_fma_f64 v[94:95], v[134:135], s[20:21], -v[205:206]
	v_add_f64 v[92:93], v[92:93], v[96:97]
	v_fma_f64 v[96:97], v[132:133], s[16:17], -v[177:178]
	v_add_f64 v[94:95], v[94:95], v[98:99]
	v_fma_f64 v[98:99], v[134:135], s[16:17], v[166:167]
	v_add_f64 v[96:97], v[96:97], v[100:101]
	v_fma_f64 v[100:101], v[132:133], s[16:17], v[177:178]
	v_add_f64 v[98:99], v[98:99], v[102:103]
	v_mul_f64 v[177:178], v[225:226], s[34:35]
	v_add_f64 v[100:101], v[100:101], v[2:3]
	v_fma_f64 v[2:3], v[134:135], s[16:17], -v[166:167]
	v_add_f64 v[166:167], v[30:31], v[42:43]
	v_add_f64 v[102:103], v[2:3], v[164:165]
	;; [unrolled: 1-line block ×3, first 2 shown]
	v_fma_f64 v[2:3], v[164:165], s[18:19], v[177:178]
	v_add_f64 v[4:5], v[2:3], v[4:5]
	v_fma_f64 v[2:3], v[166:167], s[18:19], -v[179:180]
	v_add_f64 v[6:7], v[2:3], v[6:7]
	v_fma_f64 v[2:3], v[164:165], s[0:1], v[195:196]
	v_add_f64 v[227:228], v[2:3], v[8:9]
	v_fma_f64 v[2:3], v[166:167], s[0:1], -v[201:202]
	v_add_f64 v[229:230], v[2:3], v[10:11]
	v_fma_f64 v[2:3], v[164:165], s[10:11], v[207:208]
	v_add_f64 v[236:237], v[2:3], v[211:212]
	v_fma_f64 v[2:3], v[166:167], s[10:11], -v[209:210]
	v_mul_f64 v[211:212], v[225:226], s[42:43]
	v_add_f64 v[238:239], v[2:3], v[213:214]
	v_mul_f64 v[213:214], v[219:220], s[42:43]
	v_fma_f64 v[2:3], v[164:165], s[20:21], v[211:212]
	v_add_f64 v[245:246], v[2:3], v[12:13]
	v_fma_f64 v[2:3], v[166:167], s[20:21], -v[213:214]
	v_mov_b32_e32 v13, v7
	v_mov_b32_e32 v12, v6
	v_mov_b32_e32 v11, v5
	v_mov_b32_e32 v10, v4
	v_add_f64 v[247:248], v[2:3], v[14:15]
	v_fma_f64 v[2:3], v[164:165], s[22:23], v[221:222]
	v_add_f64 v[249:250], v[2:3], v[16:17]
	v_mov_b32_e32 v14, v227
	v_mov_b32_e32 v15, v228
	;; [unrolled: 1-line block ×4, first 2 shown]
	v_fma_f64 v[2:3], v[166:167], s[22:23], -v[223:224]
	v_mul_f64 v[227:228], v[225:226], s[28:29]
	v_mul_f64 v[229:230], v[219:220], s[28:29]
	v_add_f64 v[251:252], v[2:3], v[18:19]
	v_fma_f64 v[2:3], v[164:165], s[4:5], v[227:228]
	v_add_f64 v[88:89], v[2:3], v[88:89]
	v_fma_f64 v[2:3], v[166:167], s[4:5], -v[229:230]
	v_add_f64 v[90:91], v[2:3], v[90:91]
	v_fma_f64 v[2:3], v[164:165], s[16:17], v[231:232]
	v_add_f64 v[92:93], v[2:3], v[92:93]
	v_fma_f64 v[2:3], v[166:167], s[16:17], -v[233:234]
	v_add_f64 v[94:95], v[2:3], v[94:95]
	v_mul_f64 v[2:3], v[225:226], s[38:39]
	v_fma_f64 v[4:5], v[164:165], s[8:9], -v[2:3]
	v_fma_f64 v[2:3], v[164:165], s[8:9], v[2:3]
	v_add_f64 v[96:97], v[4:5], v[96:97]
	v_mul_f64 v[4:5], v[219:220], s[38:39]
	v_add_f64 v[100:101], v[2:3], v[100:101]
	v_fma_f64 v[2:3], v[166:167], s[8:9], -v[4:5]
	v_fma_f64 v[6:7], v[166:167], s[8:9], v[4:5]
	v_add_f64 v[102:103], v[2:3], v[102:103]
	buffer_load_dword v2, off, s[64:67], 0  ; 4-byte Folded Reload
	v_add_f64 v[98:99], v[6:7], v[98:99]
	s_waitcnt vmcnt(0)
	v_mul_lo_u16_e32 v18, 17, v2
	s_and_saveexec_b64 s[24:25], vcc
	s_cbranch_execz .LBB0_7
; %bb.6:
	v_add_f64 v[2:3], v[22:23], v[78:79]
	v_add_f64 v[4:5], v[20:21], v[76:77]
	v_mul_f64 v[76:77], v[154:155], s[8:9]
	v_mul_f64 v[78:79], v[122:123], s[4:5]
	v_add_f64 v[2:3], v[82:83], v[2:3]
	v_add_f64 v[4:5], v[80:81], v[4:5]
	v_mul_f64 v[80:81], v[112:113], s[10:11]
	v_mul_f64 v[82:83], v[152:153], s[8:9]
	v_add_f64 v[2:3], v[70:71], v[2:3]
	v_add_f64 v[4:5], v[68:69], v[4:5]
	v_mul_f64 v[68:69], v[243:244], s[18:19]
	v_add_f64 v[2:3], v[74:75], v[2:3]
	v_mul_f64 v[74:75], v[185:186], s[22:23]
	v_add_f64 v[4:5], v[72:73], v[4:5]
	v_mul_f64 v[72:73], v[217:218], s[0:1]
	v_add_f64 v[68:69], v[187:188], v[68:69]
	v_mul_f64 v[187:188], v[215:216], s[10:11]
	v_add_f64 v[6:7], v[86:87], v[2:3]
	v_add_f64 v[74:75], v[0:1], v[74:75]
	buffer_load_dword v0, off, s[64:67], 0 offset:468 ; 4-byte Folded Reload
	buffer_load_dword v1, off, s[64:67], 0 offset:472 ; 4-byte Folded Reload
	v_add_f64 v[72:73], v[140:141], v[72:73]
	v_add_f64 v[70:71], v[84:85], v[4:5]
	v_mul_f64 v[4:5], v[134:135], s[20:21]
	v_mul_f64 v[2:3], v[166:167], s[16:17]
	;; [unrolled: 1-line block ×5, first 2 shown]
	v_add_f64 v[6:7], v[54:55], v[6:7]
	v_add_f64 v[52:53], v[52:53], v[70:71]
	v_add_f64 v[4:5], v[205:206], v[4:5]
	v_add_f64 v[2:3], v[233:234], v[2:3]
	v_add_f64 v[140:141], v[146:147], v[140:141]
	v_add_f64 v[6:7], v[26:27], v[6:7]
	v_mul_f64 v[146:147], v[134:135], s[8:9]
	v_add_f64 v[24:25], v[24:25], v[52:53]
	v_add_f64 v[6:7], v[30:31], v[6:7]
	;; [unrolled: 1-line block ×4, first 2 shown]
	v_mul_f64 v[172:173], v[185:186], s[8:9]
	v_add_f64 v[6:7], v[42:43], v[6:7]
	v_add_f64 v[24:25], v[40:41], v[24:25]
	v_add_f64 v[6:7], v[46:47], v[6:7]
	v_add_f64 v[24:25], v[44:45], v[24:25]
	v_add_f64 v[6:7], v[34:35], v[6:7]
	v_add_f64 v[24:25], v[32:33], v[24:25]
	v_add_f64 v[6:7], v[38:39], v[6:7]
	v_add_f64 v[24:25], v[36:37], v[24:25]
	v_add_f64 v[6:7], v[50:51], v[6:7]
	v_add_f64 v[24:25], v[48:49], v[24:25]
	v_add_f64 v[6:7], v[58:59], v[6:7]
	v_add_f64 v[24:25], v[56:57], v[24:25]
	s_waitcnt vmcnt(0)
	v_add_f64 v[76:77], v[0:1], v[76:77]
	buffer_load_dword v0, off, s[64:67], 0 offset:364 ; 4-byte Folded Reload
	buffer_load_dword v1, off, s[64:67], 0 offset:368 ; 4-byte Folded Reload
	v_add_f64 v[6:7], v[62:63], v[6:7]
	v_add_f64 v[24:25], v[60:61], v[24:25]
	s_waitcnt vmcnt(0)
	v_add_f64 v[78:79], v[0:1], v[78:79]
	buffer_load_dword v0, off, s[64:67], 0 offset:196 ; 4-byte Folded Reload
	buffer_load_dword v1, off, s[64:67], 0 offset:200 ; 4-byte Folded Reload
	s_waitcnt vmcnt(0)
	v_add_f64 v[80:81], v[0:1], v[80:81]
	buffer_load_dword v0, off, s[64:67], 0 offset:460 ; 4-byte Folded Reload
	buffer_load_dword v1, off, s[64:67], 0 offset:464 ; 4-byte Folded Reload
	v_add_f64 v[80:81], v[22:23], v[80:81]
	v_add_f64 v[78:79], v[78:79], v[80:81]
	v_mul_f64 v[80:81], v[110:111], s[10:11]
	v_add_f64 v[76:77], v[76:77], v[78:79]
	v_mul_f64 v[78:79], v[120:121], s[4:5]
	;; [unrolled: 2-line block ×3, first 2 shown]
	v_add_f64 v[72:73], v[72:73], v[74:75]
	v_add_f64 v[76:77], v[76:77], -v[136:137]
	v_mul_f64 v[136:137], v[132:133], s[22:23]
	v_add_f64 v[68:69], v[68:69], v[72:73]
	v_add_f64 v[136:137], v[136:137], -v[181:182]
	v_mul_f64 v[181:182], v[185:186], s[18:19]
	v_add_f64 v[4:5], v[4:5], v[68:69]
	v_add_f64 v[4:5], v[2:3], v[4:5]
	s_waitcnt vmcnt(0)
	v_add_f64 v[82:83], v[82:83], -v[0:1]
	buffer_load_dword v0, off, s[64:67], 0 offset:188 ; 4-byte Folded Reload
	buffer_load_dword v1, off, s[64:67], 0 offset:192 ; 4-byte Folded Reload
	s_waitcnt vmcnt(0)
	v_add_f64 v[80:81], v[80:81], -v[0:1]
	buffer_load_dword v0, off, s[64:67], 0 offset:356 ; 4-byte Folded Reload
	buffer_load_dword v1, off, s[64:67], 0 offset:360 ; 4-byte Folded Reload
	v_add_f64 v[80:81], v[20:21], v[80:81]
	s_waitcnt vmcnt(0)
	v_add_f64 v[78:79], v[78:79], -v[0:1]
	buffer_load_dword v0, off, s[64:67], 0 offset:580 ; 4-byte Folded Reload
	buffer_load_dword v1, off, s[64:67], 0 offset:584 ; 4-byte Folded Reload
	v_add_f64 v[78:79], v[78:79], v[80:81]
	v_mul_f64 v[80:81], v[183:184], s[22:23]
	v_add_f64 v[78:79], v[82:83], v[78:79]
	v_mul_f64 v[82:83], v[122:123], s[10:11]
	s_waitcnt vmcnt(0)
	v_add_f64 v[80:81], v[80:81], -v[0:1]
	buffer_load_dword v0, off, s[64:67], 0 offset:452 ; 4-byte Folded Reload
	buffer_load_dword v1, off, s[64:67], 0 offset:456 ; 4-byte Folded Reload
	v_add_f64 v[78:79], v[80:81], v[78:79]
	v_mul_f64 v[80:81], v[241:242], s[18:19]
	v_add_f64 v[74:75], v[76:77], v[78:79]
	v_add_f64 v[80:81], v[80:81], -v[174:175]
	v_mul_f64 v[76:77], v[132:133], s[20:21]
	v_mul_f64 v[78:79], v[120:121], s[16:17]
	;; [unrolled: 1-line block ×3, first 2 shown]
	v_add_f64 v[72:73], v[80:81], v[74:75]
	v_add_f64 v[76:77], v[76:77], -v[203:204]
	v_mul_f64 v[74:75], v[164:165], s[16:17]
	v_mul_f64 v[203:204], v[166:167], s[18:19]
	v_add_f64 v[68:69], v[76:77], v[72:73]
	v_add_f64 v[74:75], v[74:75], -v[231:232]
	v_mul_f64 v[72:73], v[112:113], s[22:23]
	v_mul_f64 v[76:77], v[110:111], s[22:23]
	v_add_f64 v[2:3], v[74:75], v[68:69]
	v_mul_f64 v[68:69], v[154:155], s[0:1]
	v_mul_f64 v[74:75], v[122:123], s[16:17]
	s_waitcnt vmcnt(0)
	v_add_f64 v[68:69], v[0:1], v[68:69]
	buffer_load_dword v0, off, s[64:67], 0 offset:180 ; 4-byte Folded Reload
	buffer_load_dword v1, off, s[64:67], 0 offset:184 ; 4-byte Folded Reload
	s_waitcnt vmcnt(0)
	v_add_f64 v[72:73], v[0:1], v[72:73]
	buffer_load_dword v0, off, s[64:67], 0 offset:340 ; 4-byte Folded Reload
	buffer_load_dword v1, off, s[64:67], 0 offset:344 ; 4-byte Folded Reload
	v_add_f64 v[72:73], v[22:23], v[72:73]
	s_waitcnt vmcnt(0)
	v_add_f64 v[74:75], v[0:1], v[74:75]
	buffer_load_dword v0, off, s[64:67], 0 offset:564 ; 4-byte Folded Reload
	buffer_load_dword v1, off, s[64:67], 0 offset:568 ; 4-byte Folded Reload
	v_add_f64 v[72:73], v[74:75], v[72:73]
	v_mul_f64 v[74:75], v[185:186], s[10:11]
	v_add_f64 v[68:69], v[68:69], v[72:73]
	v_mul_f64 v[72:73], v[217:218], s[8:9]
	;; [unrolled: 2-line block ×3, first 2 shown]
	s_waitcnt vmcnt(0)
	v_add_f64 v[74:75], v[0:1], v[74:75]
	buffer_load_dword v0, off, s[64:67], 0 offset:436 ; 4-byte Folded Reload
	buffer_load_dword v1, off, s[64:67], 0 offset:440 ; 4-byte Folded Reload
	v_add_f64 v[68:69], v[74:75], v[68:69]
	v_mul_f64 v[74:75], v[243:244], s[20:21]
	v_add_f64 v[68:69], v[72:73], v[68:69]
	v_add_f64 v[74:75], v[170:171], v[74:75]
	v_mul_f64 v[72:73], v[134:135], s[18:19]
	v_mul_f64 v[170:171], v[183:184], s[8:9]
	v_add_f64 v[68:69], v[74:75], v[68:69]
	v_add_f64 v[72:73], v[199:200], v[72:73]
	v_mul_f64 v[74:75], v[166:167], s[4:5]
	v_mul_f64 v[199:200], v[134:135], s[10:11]
	v_add_f64 v[68:69], v[72:73], v[68:69]
	v_mul_f64 v[72:73], v[152:153], s[0:1]
	v_add_f64 v[74:75], v[229:230], v[74:75]
	v_add_f64 v[68:69], v[74:75], v[68:69]
	s_waitcnt vmcnt(0)
	v_add_f64 v[72:73], v[72:73], -v[0:1]
	buffer_load_dword v0, off, s[64:67], 0 offset:172 ; 4-byte Folded Reload
	buffer_load_dword v1, off, s[64:67], 0 offset:176 ; 4-byte Folded Reload
	s_waitcnt vmcnt(0)
	v_add_f64 v[76:77], v[76:77], -v[0:1]
	buffer_load_dword v0, off, s[64:67], 0 offset:324 ; 4-byte Folded Reload
	buffer_load_dword v1, off, s[64:67], 0 offset:328 ; 4-byte Folded Reload
	v_add_f64 v[76:77], v[20:21], v[76:77]
	s_waitcnt vmcnt(0)
	v_add_f64 v[78:79], v[78:79], -v[0:1]
	buffer_load_dword v0, off, s[64:67], 0 offset:556 ; 4-byte Folded Reload
	buffer_load_dword v1, off, s[64:67], 0 offset:560 ; 4-byte Folded Reload
	v_add_f64 v[76:77], v[78:79], v[76:77]
	v_mul_f64 v[78:79], v[183:184], s[10:11]
	v_add_f64 v[72:73], v[72:73], v[76:77]
	v_mul_f64 v[76:77], v[215:216], s[8:9]
	v_add_f64 v[76:77], v[76:77], -v[128:129]
	v_mul_f64 v[128:129], v[120:121], s[18:19]
	s_waitcnt vmcnt(0)
	v_add_f64 v[78:79], v[78:79], -v[0:1]
	buffer_load_dword v0, off, s[64:67], 0 offset:428 ; 4-byte Folded Reload
	buffer_load_dword v1, off, s[64:67], 0 offset:432 ; 4-byte Folded Reload
	v_add_f64 v[72:73], v[78:79], v[72:73]
	v_mul_f64 v[78:79], v[241:242], s[20:21]
	v_add_f64 v[72:73], v[76:77], v[72:73]
	v_add_f64 v[78:79], v[78:79], -v[168:169]
	v_mul_f64 v[76:77], v[132:133], s[18:19]
	v_mul_f64 v[168:169], v[152:153], s[22:23]
	v_add_f64 v[72:73], v[78:79], v[72:73]
	v_add_f64 v[76:77], v[76:77], -v[197:198]
	v_mul_f64 v[197:198], v[241:242], s[0:1]
	v_mul_f64 v[78:79], v[164:165], s[4:5]
	v_add_f64 v[80:81], v[76:77], v[72:73]
	v_mul_f64 v[72:73], v[154:155], s[20:21]
	v_mul_f64 v[76:77], v[112:113], s[16:17]
	v_add_f64 v[70:71], v[197:198], -v[116:117]
	v_add_f64 v[78:79], v[78:79], -v[227:228]
	s_waitcnt vmcnt(0)
	v_add_f64 v[72:73], v[0:1], v[72:73]
	buffer_load_dword v0, off, s[64:67], 0 offset:156 ; 4-byte Folded Reload
	buffer_load_dword v1, off, s[64:67], 0 offset:160 ; 4-byte Folded Reload
	s_waitcnt vmcnt(0)
	v_add_f64 v[76:77], v[0:1], v[76:77]
	buffer_load_dword v0, off, s[64:67], 0 offset:316 ; 4-byte Folded Reload
	buffer_load_dword v1, off, s[64:67], 0 offset:320 ; 4-byte Folded Reload
	v_add_f64 v[76:77], v[22:23], v[76:77]
	s_waitcnt vmcnt(0)
	v_add_f64 v[82:83], v[0:1], v[82:83]
	buffer_load_dword v0, off, s[64:67], 0 offset:548 ; 4-byte Folded Reload
	buffer_load_dword v1, off, s[64:67], 0 offset:552 ; 4-byte Folded Reload
	;; [unrolled: 1-line block ×4, first 2 shown]
	v_add_f64 v[76:77], v[82:83], v[76:77]
	v_mul_f64 v[82:83], v[185:186], s[4:5]
	v_add_f64 v[72:73], v[72:73], v[76:77]
	v_mul_f64 v[76:77], v[217:218], s[18:19]
	;; [unrolled: 2-line block ×3, first 2 shown]
	s_waitcnt vmcnt(2)
	v_add_f64 v[0:1], v[0:1], v[82:83]
	v_mul_f64 v[82:83], v[110:111], s[16:17]
	v_add_f64 v[0:1], v[0:1], v[72:73]
	v_mul_f64 v[72:73], v[243:244], s[8:9]
	v_add_f64 v[0:1], v[76:77], v[0:1]
	v_add_f64 v[72:73], v[162:163], v[72:73]
	v_mul_f64 v[76:77], v[134:135], s[0:1]
	v_mul_f64 v[162:163], v[154:155], s[4:5]
	v_add_f64 v[0:1], v[72:73], v[0:1]
	v_add_f64 v[76:77], v[193:194], v[76:77]
	v_mul_f64 v[72:73], v[166:167], s[22:23]
	v_mul_f64 v[193:194], v[243:244], s[16:17]
	v_add_f64 v[0:1], v[76:77], v[0:1]
	v_mul_f64 v[76:77], v[152:153], s[20:21]
	v_add_f64 v[72:73], v[223:224], v[72:73]
	v_add_f64 v[124:125], v[124:125], v[193:194]
	v_mul_f64 v[193:194], v[166:167], s[0:1]
	s_waitcnt vmcnt(0)
	v_add_f64 v[76:77], v[76:77], -v[8:9]
	buffer_load_dword v8, off, s[64:67], 0 offset:132 ; 4-byte Folded Reload
	buffer_load_dword v9, off, s[64:67], 0 offset:136 ; 4-byte Folded Reload
	v_add_f64 v[72:73], v[72:73], v[0:1]
	s_waitcnt vmcnt(0)
	v_add_f64 v[82:83], v[82:83], -v[8:9]
	buffer_load_dword v8, off, s[64:67], 0 offset:300 ; 4-byte Folded Reload
	buffer_load_dword v9, off, s[64:67], 0 offset:304 ; 4-byte Folded Reload
	v_add_f64 v[82:83], v[20:21], v[82:83]
	;; [unrolled: 5-line block ×3, first 2 shown]
	v_mul_f64 v[84:85], v[183:184], s[4:5]
	v_add_f64 v[76:77], v[76:77], v[82:83]
	v_mul_f64 v[82:83], v[215:216], s[18:19]
	v_add_f64 v[82:83], v[82:83], -v[118:119]
	v_mul_f64 v[118:119], v[122:123], s[18:19]
	s_waitcnt vmcnt(0)
	v_add_f64 v[84:85], v[84:85], -v[8:9]
	buffer_load_dword v8, off, s[64:67], 0 offset:412 ; 4-byte Folded Reload
	buffer_load_dword v9, off, s[64:67], 0 offset:416 ; 4-byte Folded Reload
	v_add_f64 v[76:77], v[84:85], v[76:77]
	v_mul_f64 v[84:85], v[241:242], s[8:9]
	v_add_f64 v[76:77], v[82:83], v[76:77]
	v_add_f64 v[84:85], v[84:85], -v[160:161]
	v_mul_f64 v[82:83], v[132:133], s[0:1]
	v_mul_f64 v[160:161], v[152:153], s[4:5]
	v_add_f64 v[76:77], v[84:85], v[76:77]
	v_add_f64 v[82:83], v[82:83], -v[191:192]
	v_mul_f64 v[191:192], v[243:244], s[22:23]
	v_mul_f64 v[84:85], v[164:165], s[22:23]
	v_add_f64 v[82:83], v[82:83], v[76:77]
	v_mul_f64 v[76:77], v[154:155], s[16:17]
	v_add_f64 v[38:39], v[253:254], v[191:192]
	v_add_f64 v[84:85], v[84:85], -v[221:222]
	s_waitcnt vmcnt(0)
	v_add_f64 v[76:77], v[8:9], v[76:77]
	buffer_load_dword v8, off, s[64:67], 0 offset:116 ; 4-byte Folded Reload
	buffer_load_dword v9, off, s[64:67], 0 offset:120 ; 4-byte Folded Reload
	s_waitcnt vmcnt(0)
	v_add_f64 v[86:87], v[8:9], v[86:87]
	buffer_load_dword v8, off, s[64:67], 0 offset:276 ; 4-byte Folded Reload
	buffer_load_dword v9, off, s[64:67], 0 offset:280 ; 4-byte Folded Reload
	v_add_f64 v[86:87], v[22:23], v[86:87]
	s_waitcnt vmcnt(0)
	v_add_f64 v[118:119], v[8:9], v[118:119]
	buffer_load_dword v8, off, s[64:67], 0 offset:524 ; 4-byte Folded Reload
	buffer_load_dword v9, off, s[64:67], 0 offset:528 ; 4-byte Folded Reload
	v_add_f64 v[86:87], v[118:119], v[86:87]
	v_mul_f64 v[118:119], v[185:186], s[0:1]
	v_add_f64 v[76:77], v[76:77], v[86:87]
	v_mul_f64 v[86:87], v[217:218], s[4:5]
	;; [unrolled: 2-line block ×4, first 2 shown]
	v_mul_f64 v[122:123], v[122:123], s[8:9]
	s_waitcnt vmcnt(0)
	v_add_f64 v[118:119], v[8:9], v[118:119]
	buffer_load_dword v8, off, s[64:67], 0 offset:396 ; 4-byte Folded Reload
	buffer_load_dword v9, off, s[64:67], 0 offset:400 ; 4-byte Folded Reload
	v_add_f64 v[76:77], v[118:119], v[76:77]
	v_mul_f64 v[118:119], v[152:153], s[16:17]
	v_mul_f64 v[152:153], v[152:153], s[18:19]
	v_add_f64 v[76:77], v[86:87], v[76:77]
	v_mul_f64 v[86:87], v[134:135], s[22:23]
	v_mul_f64 v[134:135], v[134:135], s[4:5]
	v_add_f64 v[76:77], v[114:115], v[76:77]
	v_add_f64 v[86:87], v[189:190], v[86:87]
	v_mul_f64 v[189:190], v[217:218], s[10:11]
	v_mul_f64 v[114:115], v[166:167], s[20:21]
	;; [unrolled: 1-line block ×3, first 2 shown]
	v_add_f64 v[76:77], v[86:87], v[76:77]
	v_mul_f64 v[86:87], v[241:242], s[10:11]
	v_add_f64 v[114:115], v[213:214], v[114:115]
	v_add_f64 v[54:55], v[209:210], v[166:167]
	v_add_f64 v[86:87], v[86:87], -v[156:157]
	v_mul_f64 v[156:157], v[215:216], s[20:21]
	v_add_f64 v[76:77], v[114:115], v[76:77]
	s_waitcnt vmcnt(0)
	v_add_f64 v[118:119], v[118:119], -v[8:9]
	buffer_load_dword v8, off, s[64:67], 0 offset:100 ; 4-byte Folded Reload
	buffer_load_dword v9, off, s[64:67], 0 offset:104 ; 4-byte Folded Reload
	s_waitcnt vmcnt(0)
	v_add_f64 v[126:127], v[126:127], -v[8:9]
	buffer_load_dword v8, off, s[64:67], 0 offset:236 ; 4-byte Folded Reload
	buffer_load_dword v9, off, s[64:67], 0 offset:240 ; 4-byte Folded Reload
	v_add_f64 v[126:127], v[20:21], v[126:127]
	s_waitcnt vmcnt(0)
	v_add_f64 v[128:129], v[128:129], -v[8:9]
	buffer_load_dword v8, off, s[64:67], 0 offset:516 ; 4-byte Folded Reload
	buffer_load_dword v9, off, s[64:67], 0 offset:520 ; 4-byte Folded Reload
	v_add_f64 v[126:127], v[128:129], v[126:127]
	v_mul_f64 v[128:129], v[183:184], s[0:1]
	v_add_f64 v[118:119], v[118:119], v[126:127]
	v_mul_f64 v[126:127], v[215:216], s[4:5]
	v_add_f64 v[108:109], v[126:127], -v[108:109]
	v_mul_f64 v[126:127], v[154:155], s[18:19]
	v_mul_f64 v[154:155], v[154:155], s[22:23]
	s_waitcnt vmcnt(0)
	v_add_f64 v[128:129], v[128:129], -v[8:9]
	buffer_load_dword v8, off, s[64:67], 0 offset:372 ; 4-byte Folded Reload
	buffer_load_dword v9, off, s[64:67], 0 offset:376 ; 4-byte Folded Reload
	v_add_f64 v[118:119], v[128:129], v[118:119]
	v_mul_f64 v[128:129], v[112:113], s[4:5]
	v_add_f64 v[108:109], v[108:109], v[118:119]
	v_mul_f64 v[118:119], v[110:111], s[0:1]
	;; [unrolled: 2-line block ×3, first 2 shown]
	v_mul_f64 v[110:111], v[110:111], s[4:5]
	v_add_f64 v[86:87], v[136:137], v[86:87]
	v_mul_f64 v[136:137], v[183:184], s[16:17]
	v_mul_f64 v[183:184], v[215:216], s[16:17]
	s_waitcnt vmcnt(0)
	v_add_f64 v[126:127], v[8:9], v[126:127]
	buffer_load_dword v8, off, s[64:67], 0 offset:92 ; 4-byte Folded Reload
	buffer_load_dword v9, off, s[64:67], 0 offset:96 ; 4-byte Folded Reload
	s_waitcnt vmcnt(0)
	v_add_f64 v[128:129], v[8:9], v[128:129]
	buffer_load_dword v8, off, s[64:67], 0 offset:228 ; 4-byte Folded Reload
	buffer_load_dword v9, off, s[64:67], 0 offset:232 ; 4-byte Folded Reload
	v_add_f64 v[128:129], v[22:23], v[128:129]
	s_waitcnt vmcnt(0)
	v_add_f64 v[130:131], v[8:9], v[130:131]
	buffer_load_dword v8, off, s[64:67], 0 offset:500 ; 4-byte Folded Reload
	buffer_load_dword v9, off, s[64:67], 0 offset:504 ; 4-byte Folded Reload
	v_add_f64 v[128:129], v[130:131], v[128:129]
	v_mul_f64 v[130:131], v[185:186], s[16:17]
	v_mul_f64 v[185:186], v[217:218], s[16:17]
	v_add_f64 v[126:127], v[126:127], v[128:129]
	v_mul_f64 v[128:129], v[217:218], s[20:21]
	v_add_f64 v[104:105], v[104:105], v[128:129]
	v_mul_f64 v[128:129], v[112:113], s[0:1]
	v_mul_f64 v[112:113], v[112:113], s[20:21]
	s_waitcnt vmcnt(0)
	v_add_f64 v[130:131], v[8:9], v[130:131]
	buffer_load_dword v8, off, s[64:67], 0 offset:572 ; 4-byte Folded Reload
	buffer_load_dword v9, off, s[64:67], 0 offset:576 ; 4-byte Folded Reload
	v_add_f64 v[126:127], v[130:131], v[126:127]
	v_mul_f64 v[130:131], v[164:165], s[20:21]
	v_add_f64 v[104:105], v[104:105], v[126:127]
	v_mul_f64 v[126:127], v[120:121], s[20:21]
	v_add_f64 v[130:131], v[130:131], -v[211:212]
	v_add_f64 v[104:105], v[140:141], v[104:105]
	v_mul_f64 v[140:141], v[120:121], s[8:9]
	v_mul_f64 v[120:121], v[120:121], s[22:23]
	v_add_f64 v[104:105], v[146:147], v[104:105]
	s_waitcnt vmcnt(0)
	v_add_f64 v[156:157], v[156:157], -v[8:9]
	buffer_load_dword v8, off, s[64:67], 0 offset:476 ; 4-byte Folded Reload
	buffer_load_dword v9, off, s[64:67], 0 offset:480 ; 4-byte Folded Reload
	s_waitcnt vmcnt(0)
	v_add_f64 v[136:137], v[136:137], -v[8:9]
	buffer_load_dword v8, off, s[64:67], 0 offset:76 ; 4-byte Folded Reload
	buffer_load_dword v9, off, s[64:67], 0 offset:80 ; 4-byte Folded Reload
	;; [unrolled: 4-line block ×3, first 2 shown]
	v_add_f64 v[110:111], v[20:21], v[110:111]
	s_waitcnt vmcnt(0)
	v_add_f64 v[120:121], v[120:121], -v[8:9]
	buffer_load_dword v8, off, s[64:67], 0 offset:60 ; 4-byte Folded Reload
	buffer_load_dword v9, off, s[64:67], 0 offset:64 ; 4-byte Folded Reload
	v_add_f64 v[110:111], v[120:121], v[110:111]
	v_mul_f64 v[120:121], v[241:242], s[22:23]
	s_waitcnt vmcnt(0)
	v_add_f64 v[112:113], v[8:9], v[112:113]
	buffer_load_dword v8, off, s[64:67], 0 offset:348 ; 4-byte Folded Reload
	buffer_load_dword v9, off, s[64:67], 0 offset:352 ; 4-byte Folded Reload
	v_add_f64 v[112:113], v[22:23], v[112:113]
	s_waitcnt vmcnt(0)
	v_add_f64 v[152:153], v[152:153], -v[8:9]
	buffer_load_dword v8, off, s[64:67], 0 offset:204 ; 4-byte Folded Reload
	buffer_load_dword v9, off, s[64:67], 0 offset:208 ; 4-byte Folded Reload
	v_add_f64 v[110:111], v[152:153], v[110:111]
	v_mul_f64 v[152:153], v[132:133], s[10:11]
	v_add_f64 v[110:111], v[136:137], v[110:111]
	v_mul_f64 v[136:137], v[164:165], s[18:19]
	v_add_f64 v[74:75], v[156:157], v[110:111]
	v_add_f64 v[110:111], v[148:149], v[134:135]
	;; [unrolled: 1-line block ×4, first 2 shown]
	s_waitcnt vmcnt(0)
	v_add_f64 v[122:123], v[8:9], v[122:123]
	buffer_load_dword v8, off, s[64:67], 0 offset:332 ; 4-byte Folded Reload
	buffer_load_dword v9, off, s[64:67], 0 offset:336 ; 4-byte Folded Reload
	v_add_f64 v[112:113], v[122:123], v[112:113]
	v_mul_f64 v[122:123], v[241:242], s[16:17]
	v_add_f64 v[36:37], v[122:123], -v[106:107]
	s_waitcnt vmcnt(0)
	v_add_f64 v[154:155], v[8:9], v[154:155]
	buffer_load_dword v8, off, s[64:67], 0 offset:444 ; 4-byte Folded Reload
	buffer_load_dword v9, off, s[64:67], 0 offset:448 ; 4-byte Folded Reload
	v_add_f64 v[112:113], v[154:155], v[112:113]
	v_mul_f64 v[154:155], v[132:133], s[4:5]
	v_mul_f64 v[132:133], v[132:133], s[8:9]
	v_add_f64 v[26:27], v[132:133], -v[150:151]
	s_waitcnt vmcnt(0)
	v_add_f64 v[181:182], v[8:9], v[181:182]
	buffer_load_dword v8, off, s[64:67], 0 offset:540 ; 4-byte Folded Reload
	buffer_load_dword v9, off, s[64:67], 0 offset:544 ; 4-byte Folded Reload
	v_add_f64 v[112:113], v[181:182], v[112:113]
	v_mul_f64 v[181:182], v[164:165], s[0:1]
	v_mul_f64 v[164:165], v[164:165], s[10:11]
	v_add_f64 v[52:53], v[164:165], -v[207:208]
	s_waitcnt vmcnt(0)
	v_add_f64 v[189:190], v[8:9], v[189:190]
	buffer_load_dword v8, off, s[64:67], 0 offset:28 ; 4-byte Folded Reload
	buffer_load_dword v9, off, s[64:67], 0 offset:32 ; 4-byte Folded Reload
	v_add_f64 v[0:1], v[189:190], v[112:113]
	v_add_f64 v[0:1], v[124:125], v[0:1]
	;; [unrolled: 1-line block ×3, first 2 shown]
	s_waitcnt vmcnt(0)
	v_add_f64 v[112:113], v[8:9], v[128:129]
	buffer_load_dword v8, off, s[64:67], 0 offset:12 ; 4-byte Folded Reload
	buffer_load_dword v9, off, s[64:67], 0 offset:16 ; 4-byte Folded Reload
	v_add_f64 v[22:23], v[22:23], v[112:113]
	s_waitcnt vmcnt(0)
	v_add_f64 v[28:29], v[118:119], -v[8:9]
	buffer_load_dword v8, off, s[64:67], 0 offset:44 ; 4-byte Folded Reload
	buffer_load_dword v9, off, s[64:67], 0 offset:48 ; 4-byte Folded Reload
	v_add_f64 v[28:29], v[20:21], v[28:29]
	s_waitcnt vmcnt(0)
	v_add_f64 v[30:31], v[108:109], -v[8:9]
	;; [unrolled: 5-line block ×3, first 2 shown]
	buffer_load_dword v8, off, s[64:67], 0 offset:148 ; 4-byte Folded Reload
	buffer_load_dword v9, off, s[64:67], 0 offset:152 ; 4-byte Folded Reload
	v_add_f64 v[20:21], v[108:109], v[20:21]
	s_waitcnt vmcnt(0)
	v_add_f64 v[110:111], v[8:9], v[158:159]
	buffer_load_dword v8, off, s[64:67], 0 offset:140 ; 4-byte Folded Reload
	buffer_load_dword v9, off, s[64:67], 0 offset:144 ; 4-byte Folded Reload
	v_add_f64 v[22:23], v[110:111], v[22:23]
	s_waitcnt vmcnt(0)
	v_add_f64 v[112:113], v[126:127], -v[8:9]
	buffer_load_dword v8, off, s[64:67], 0 offset:284 ; 4-byte Folded Reload
	buffer_load_dword v9, off, s[64:67], 0 offset:288 ; 4-byte Folded Reload
	v_add_f64 v[28:29], v[112:113], v[28:29]
	s_waitcnt vmcnt(0)
	v_add_f64 v[30:31], v[168:169], -v[8:9]
	buffer_load_dword v8, off, s[64:67], 0 offset:268 ; 4-byte Folded Reload
	buffer_load_dword v9, off, s[64:67], 0 offset:272 ; 4-byte Folded Reload
	v_add_f64 v[20:21], v[30:31], v[20:21]
	s_waitcnt vmcnt(0)
	v_add_f64 v[40:41], v[8:9], v[162:163]
	buffer_load_dword v8, off, s[64:67], 0 offset:252 ; 4-byte Folded Reload
	buffer_load_dword v9, off, s[64:67], 0 offset:256 ; 4-byte Folded Reload
	v_add_f64 v[22:23], v[40:41], v[22:23]
	s_waitcnt vmcnt(0)
	v_add_f64 v[42:43], v[160:161], -v[8:9]
	buffer_load_dword v8, off, s[64:67], 0 offset:404 ; 4-byte Folded Reload
	buffer_load_dword v9, off, s[64:67], 0 offset:408 ; 4-byte Folded Reload
	v_add_f64 v[28:29], v[42:43], v[28:29]
	s_waitcnt vmcnt(0)
	v_add_f64 v[44:45], v[174:175], -v[8:9]
	buffer_load_dword v8, off, s[64:67], 0 offset:388 ; 4-byte Folded Reload
	buffer_load_dword v9, off, s[64:67], 0 offset:392 ; 4-byte Folded Reload
	v_add_f64 v[20:21], v[44:45], v[20:21]
	s_waitcnt vmcnt(0)
	v_add_f64 v[46:47], v[8:9], v[172:173]
	buffer_load_dword v8, off, s[64:67], 0 offset:380 ; 4-byte Folded Reload
	buffer_load_dword v9, off, s[64:67], 0 offset:384 ; 4-byte Folded Reload
	v_add_f64 v[22:23], v[46:47], v[22:23]
	s_waitcnt vmcnt(0)
	v_add_f64 v[40:41], v[170:171], -v[8:9]
	buffer_load_dword v8, off, s[64:67], 0 offset:508 ; 4-byte Folded Reload
	buffer_load_dword v9, off, s[64:67], 0 offset:512 ; 4-byte Folded Reload
	v_add_f64 v[28:29], v[40:41], v[28:29]
	v_add_f64 v[40:41], v[136:137], -v[177:178]
	s_waitcnt vmcnt(0)
	v_add_f64 v[30:31], v[187:188], -v[8:9]
	buffer_load_dword v8, off, s[64:67], 0 offset:492 ; 4-byte Folded Reload
	buffer_load_dword v9, off, s[64:67], 0 offset:496 ; 4-byte Folded Reload
	v_add_f64 v[20:21], v[30:31], v[20:21]
	v_add_f64 v[30:31], v[154:155], -v[144:145]
	v_add_f64 v[20:21], v[36:37], v[20:21]
	v_add_f64 v[36:37], v[181:182], -v[195:196]
	v_add_f64 v[20:21], v[30:31], v[20:21]
	s_waitcnt vmcnt(0)
	v_add_f64 v[32:33], v[8:9], v[185:186]
	buffer_load_dword v8, off, s[64:67], 0 offset:484 ; 4-byte Folded Reload
	buffer_load_dword v9, off, s[64:67], 0 offset:488 ; 4-byte Folded Reload
	v_add_f64 v[22:23], v[32:33], v[22:23]
	v_add_f64 v[22:23], v[38:39], v[22:23]
	v_add_f64 v[38:39], v[152:153], -v[138:139]
	s_waitcnt vmcnt(0)
	v_add_f64 v[34:35], v[183:184], -v[8:9]
	buffer_load_dword v8, off, s[64:67], 0 offset:588 ; 4-byte Folded Reload
	buffer_load_dword v9, off, s[64:67], 0 offset:592 ; 4-byte Folded Reload
	v_add_f64 v[28:29], v[34:35], v[28:29]
	v_add_f64 v[34:35], v[142:143], v[199:200]
	;; [unrolled: 1-line block ×4, first 2 shown]
	s_waitcnt vmcnt(0)
	v_add_f64 v[32:33], v[120:121], -v[8:9]
	v_add_f64 v[28:29], v[32:33], v[28:29]
	v_add_f64 v[32:33], v[179:180], v[203:204]
	;; [unrolled: 1-line block ×14, first 2 shown]
	v_add_lshl_u32 v0, v235, v18, 4
	ds_write_b128 v0, v[32:35]
	ds_write_b128 v0, v[28:31] offset:16
	ds_write_b128 v0, v[24:27] offset:32
	;; [unrolled: 1-line block ×16, first 2 shown]
.LBB0_7:
	s_or_b64 exec, exec, s[24:25]
	s_waitcnt lgkmcnt(0)
	s_barrier
	buffer_load_dword v181, off, s[64:67], 0 ; 4-byte Folded Reload
	s_waitcnt vmcnt(0)
	v_add_lshl_u32 v23, v235, v181, 4
	ds_read_b128 v[60:63], v23
	ds_read_b128 v[56:59], v23 offset:1088
	ds_read_b128 v[76:79], v23 offset:2720
	;; [unrolled: 1-line block ×7, first 2 shown]
	v_cmp_gt_u16_e64 s[0:1], 34, v181
	s_and_saveexec_b64 s[4:5], s[0:1]
	s_cbranch_execz .LBB0_9
; %bb.8:
	ds_read_b128 v[96:99], v23 offset:2176
	ds_read_b128 v[100:103], v23 offset:4896
	;; [unrolled: 1-line block ×4, first 2 shown]
.LBB0_9:
	s_or_b64 exec, exec, s[4:5]
	s_movk_i32 s8, 0xf1
	v_mul_lo_u16_sdwa v0, v181, s8 dst_sel:DWORD dst_unused:UNUSED_PAD src0_sel:BYTE_0 src1_sel:DWORD
	v_lshrrev_b16_e32 v4, 12, v0
	v_add_u16_e32 v2, 0x44, v181
	v_mul_lo_u16_e32 v0, 17, v4
	v_mul_lo_u16_sdwa v3, v2, s8 dst_sel:DWORD dst_unused:UNUSED_PAD src0_sel:BYTE_0 src1_sel:DWORD
	v_sub_u16_e32 v0, v181, v0
	v_lshrrev_b16_e32 v6, 12, v3
	v_and_b32_e32 v5, 0xff, v0
	v_mul_lo_u16_e32 v3, 17, v6
	v_mad_u64_u32 v[0:1], s[4:5], v5, 48, s[2:3]
	v_sub_u16_e32 v2, v2, v3
	v_and_b32_e32 v7, 0xff, v2
	v_mad_u64_u32 v[2:3], s[4:5], v7, 48, s[2:3]
	global_load_dwordx4 v[44:47], v[0:1], off offset:16
	global_load_dwordx4 v[48:51], v[0:1], off
	global_load_dwordx4 v[32:35], v[2:3], off offset:16
	global_load_dwordx4 v[36:39], v[0:1], off offset:32
	global_load_dwordx4 v[40:43], v[2:3], off
                                        ; kill: killed $vgpr0_vgpr1
	v_add_u16_e32 v0, 0x88, v181
	v_mul_lo_u16_sdwa v1, v0, s8 dst_sel:DWORD dst_unused:UNUSED_PAD src0_sel:BYTE_0 src1_sel:DWORD
	v_lshrrev_b16_e32 v255, 12, v1
	v_mul_lo_u16_e32 v1, 17, v255
	v_sub_u16_e32 v0, v0, v1
	v_and_b32_e32 v189, 0xff, v0
	v_mad_u64_u32 v[0:1], s[4:5], v189, 48, s[2:3]
	global_load_dwordx4 v[52:55], v[2:3], off offset:32
	global_load_dwordx4 v[28:31], v[0:1], off
	global_load_dwordx4 v[24:27], v[0:1], off offset:16
	global_load_dwordx4 v[241:244], v[0:1], off offset:32
                                        ; kill: killed $vgpr0_vgpr1
	v_mul_u32_u24_e32 v0, 0x44, v4
	v_mul_u32_u24_e32 v1, 0x44, v6
	v_add_u32_e32 v0, v0, v5
	v_add_u32_e32 v1, v1, v7
	v_add_lshl_u32 v182, v235, v0, 4
	v_add_lshl_u32 v190, v235, v1, 4
                                        ; kill: killed $vgpr2_vgpr3
	s_load_dwordx4 s[4:7], s[6:7], 0x0
	s_waitcnt vmcnt(0) lgkmcnt(0)
	s_barrier
	v_mul_f64 v[4:5], v[82:83], v[46:47]
	v_mul_f64 v[0:1], v[78:79], v[50:51]
	;; [unrolled: 1-line block ×9, first 2 shown]
	v_fma_f64 v[76:77], v[76:77], v[48:49], -v[0:1]
	v_fma_f64 v[0:1], v[80:81], v[44:45], -v[4:5]
	;; [unrolled: 1-line block ×3, first 2 shown]
	buffer_store_dword v36, off, s[64:67], 0 offset:28 ; 4-byte Folded Spill
	s_nop 0
	buffer_store_dword v37, off, s[64:67], 0 offset:32 ; 4-byte Folded Spill
	buffer_store_dword v38, off, s[64:67], 0 offset:36 ; 4-byte Folded Spill
	;; [unrolled: 1-line block ×3, first 2 shown]
	v_fma_f64 v[20:21], v[64:65], v[40:41], -v[106:107]
	buffer_store_dword v40, off, s[64:67], 0 offset:44 ; 4-byte Folded Spill
	s_nop 0
	buffer_store_dword v41, off, s[64:67], 0 offset:48 ; 4-byte Folded Spill
	buffer_store_dword v42, off, s[64:67], 0 offset:52 ; 4-byte Folded Spill
	;; [unrolled: 1-line block ×3, first 2 shown]
	v_mul_f64 v[6:7], v[80:81], v[46:47]
	v_mul_f64 v[114:115], v[74:75], v[54:55]
	;; [unrolled: 1-line block ×7, first 2 shown]
	v_fma_f64 v[78:79], v[78:79], v[48:49], v[2:3]
	v_fma_f64 v[2:3], v[82:83], v[44:45], v[6:7]
	v_mul_f64 v[126:127], v[90:91], v[243:244]
	v_mul_f64 v[128:129], v[88:89], v[243:244]
	v_add_f64 v[4:5], v[76:77], -v[4:5]
	v_fma_f64 v[82:83], v[92:93], v[24:25], -v[122:123]
	v_fma_f64 v[76:77], v[76:77], 2.0, -v[4:5]
	v_fma_f64 v[6:7], v[86:87], v[36:37], v[104:105]
	v_fma_f64 v[86:87], v[88:89], v[241:242], -v[126:127]
	v_fma_f64 v[64:65], v[66:67], v[40:41], v[108:109]
	v_fma_f64 v[66:67], v[68:69], v[32:33], -v[110:111]
	buffer_store_dword v32, off, s[64:67], 0 offset:12 ; 4-byte Folded Spill
	s_nop 0
	buffer_store_dword v33, off, s[64:67], 0 offset:16 ; 4-byte Folded Spill
	buffer_store_dword v34, off, s[64:67], 0 offset:20 ; 4-byte Folded Spill
	;; [unrolled: 1-line block ×3, first 2 shown]
	v_fma_f64 v[88:89], v[90:91], v[241:242], v[128:129]
	v_add_f64 v[90:91], v[60:61], -v[0:1]
	v_add_f64 v[0:1], v[96:97], -v[82:83]
	v_add_f64 v[6:7], v[78:79], -v[6:7]
	v_fma_f64 v[82:83], v[60:61], 2.0, -v[90:91]
	v_fma_f64 v[78:79], v[78:79], 2.0, -v[6:7]
	v_add_f64 v[60:61], v[90:91], -v[6:7]
	v_fma_f64 v[68:69], v[70:71], v[32:33], v[112:113]
	v_fma_f64 v[70:71], v[72:73], v[52:53], -v[114:115]
	v_fma_f64 v[72:73], v[74:75], v[52:53], v[116:117]
	v_fma_f64 v[74:75], v[100:101], v[28:29], -v[118:119]
	buffer_store_dword v28, off, s[64:67], 0 offset:76 ; 4-byte Folded Spill
	s_nop 0
	buffer_store_dword v29, off, s[64:67], 0 offset:80 ; 4-byte Folded Spill
	buffer_store_dword v30, off, s[64:67], 0 offset:84 ; 4-byte Folded Spill
	;; [unrolled: 1-line block ×4, first 2 shown]
	s_nop 0
	buffer_store_dword v25, off, s[64:67], 0 offset:64 ; 4-byte Folded Spill
	buffer_store_dword v26, off, s[64:67], 0 offset:68 ; 4-byte Folded Spill
	;; [unrolled: 1-line block ×3, first 2 shown]
	v_add_f64 v[100:101], v[62:63], -v[2:3]
	v_add_f64 v[104:105], v[58:59], -v[68:69]
	;; [unrolled: 1-line block ×4, first 2 shown]
	v_fma_f64 v[80:81], v[102:103], v[28:29], v[120:121]
	v_fma_f64 v[84:85], v[94:95], v[24:25], v[124:125]
	v_add_f64 v[102:103], v[56:57], -v[66:67]
	v_add_f64 v[66:67], v[20:21], -v[70:71]
	v_fma_f64 v[94:95], v[64:65], 2.0, -v[68:69]
	v_add_f64 v[64:65], v[82:83], -v[76:77]
	v_add_f64 v[70:71], v[80:81], -v[88:89]
	;; [unrolled: 1-line block ×3, first 2 shown]
	v_fma_f64 v[84:85], v[62:63], 2.0, -v[100:101]
	v_fma_f64 v[86:87], v[56:57], 2.0, -v[102:103]
	;; [unrolled: 1-line block ×4, first 2 shown]
	v_add_f64 v[62:63], v[100:101], v[4:5]
	v_fma_f64 v[4:5], v[96:97], 2.0, -v[0:1]
	v_fma_f64 v[96:97], v[74:75], 2.0, -v[72:73]
	;; [unrolled: 1-line block ×4, first 2 shown]
	v_add_f64 v[58:59], v[104:105], v[66:67]
	v_add_f64 v[66:67], v[84:85], -v[78:79]
	v_add_f64 v[56:57], v[102:103], -v[68:69]
	;; [unrolled: 1-line block ×5, first 2 shown]
	v_add_f64 v[94:95], v[2:3], v[72:73]
	v_add_f64 v[96:97], v[4:5], -v[96:97]
	v_add_f64 v[98:99], v[6:7], -v[98:99]
	v_fma_f64 v[72:73], v[90:91], 2.0, -v[60:61]
	v_fma_f64 v[74:75], v[100:101], 2.0, -v[62:63]
	v_fma_f64 v[80:81], v[82:83], 2.0, -v[64:65]
	v_fma_f64 v[82:83], v[84:85], 2.0, -v[66:67]
	v_fma_f64 v[84:85], v[86:87], 2.0, -v[68:69]
	v_fma_f64 v[86:87], v[88:89], 2.0, -v[70:71]
	v_fma_f64 v[76:77], v[102:103], 2.0, -v[56:57]
	v_fma_f64 v[78:79], v[104:105], 2.0, -v[58:59]
	ds_write_b128 v182, v[60:63] offset:816
	ds_write_b128 v182, v[72:75] offset:272
	;; [unrolled: 1-line block ×3, first 2 shown]
	ds_write_b128 v182, v[80:83]
	ds_write_b128 v190, v[84:87]
	ds_write_b128 v190, v[76:79] offset:272
	ds_write_b128 v190, v[68:71] offset:544
	;; [unrolled: 1-line block ×3, first 2 shown]
	s_mov_b64 s[8:9], exec
	v_mov_b32_e32 v32, v236
	v_mov_b32_e32 v36, v245
	;; [unrolled: 1-line block ×3, first 2 shown]
	s_and_b64 s[10:11], s[8:9], s[0:1]
	v_mov_b32_e32 v33, v237
	v_mov_b32_e32 v34, v238
	;; [unrolled: 1-line block ×9, first 2 shown]
	s_mov_b64 exec, s[10:11]
	s_cbranch_execz .LBB0_11
; %bb.10:
	v_fma_f64 v[6:7], v[6:7], 2.0, -v[98:99]
	v_fma_f64 v[4:5], v[4:5], 2.0, -v[96:97]
	;; [unrolled: 1-line block ×4, first 2 shown]
	v_mul_u32_u24_e32 v8, 0x44, v255
	v_add_u32_e32 v8, v8, v189
	v_add_lshl_u32 v8, v235, v8, 4
	ds_write_b128 v8, v[4:7]
	ds_write_b128 v8, v[0:3] offset:272
	ds_write_b128 v8, v[96:99] offset:544
	;; [unrolled: 1-line block ×3, first 2 shown]
.LBB0_11:
	s_or_b64 exec, exec, s[8:9]
	v_mov_b32_e32 v0, s2
	s_movk_i32 s8, 0x90
	v_mov_b32_e32 v1, s3
	v_mad_u64_u32 v[0:1], s[2:3], v181, s8, v[0:1]
	s_waitcnt vmcnt(0) lgkmcnt(0)
	s_barrier
	global_load_dwordx4 v[72:75], v[0:1], off offset:816
	global_load_dwordx4 v[64:67], v[0:1], off offset:832
	global_load_dwordx4 v[60:63], v[0:1], off offset:848
	global_load_dwordx4 v[56:59], v[0:1], off offset:864
	global_load_dwordx4 v[84:87], v[0:1], off offset:880
	global_load_dwordx4 v[76:79], v[0:1], off offset:896
	global_load_dwordx4 v[68:71], v[0:1], off offset:912
	global_load_dwordx4 v[80:83], v[0:1], off offset:928
	global_load_dwordx4 v[88:91], v[0:1], off offset:944
                                        ; kill: killed $vgpr0_vgpr1
	ds_read_b128 v[0:3], v23
	ds_read_b128 v[4:7], v23 offset:1088
	ds_read_b128 v[100:103], v23 offset:2176
	;; [unrolled: 1-line block ×9, first 2 shown]
	s_mov_b32 s2, 0x134454ff
	s_mov_b32 s3, 0x3fee6f0e
	;; [unrolled: 1-line block ×12, first 2 shown]
	s_waitcnt vmcnt(8) lgkmcnt(8)
	v_mul_f64 v[20:21], v[6:7], v[74:75]
	s_waitcnt vmcnt(7) lgkmcnt(7)
	v_mul_f64 v[134:135], v[102:103], v[66:67]
	v_mul_f64 v[136:137], v[100:101], v[66:67]
	s_waitcnt vmcnt(6) lgkmcnt(6)
	v_mul_f64 v[138:139], v[106:107], v[62:63]
	;; [unrolled: 3-line block ×6, first 2 shown]
	v_mul_f64 v[160:161], v[124:125], v[82:83]
	v_mul_f64 v[132:133], v[4:5], v[74:75]
	s_waitcnt vmcnt(0) lgkmcnt(0)
	v_mul_f64 v[162:163], v[130:131], v[90:91]
	v_mul_f64 v[164:165], v[128:129], v[90:91]
	v_fma_f64 v[4:5], v[4:5], v[72:73], -v[20:21]
	v_fma_f64 v[20:21], v[100:101], v[64:65], -v[134:135]
	v_fma_f64 v[100:101], v[102:103], v[64:65], v[136:137]
	v_fma_f64 v[102:103], v[104:105], v[60:61], -v[138:139]
	v_fma_f64 v[104:105], v[106:107], v[60:61], v[140:141]
	;; [unrolled: 2-line block ×5, first 2 shown]
	v_fma_f64 v[118:119], v[126:127], v[80:81], v[160:161]
	v_fma_f64 v[124:125], v[124:125], v[80:81], -v[158:159]
	v_mul_f64 v[154:155], v[122:123], v[70:71]
	v_fma_f64 v[6:7], v[6:7], v[72:73], v[132:133]
	v_fma_f64 v[126:127], v[128:129], v[88:89], -v[162:163]
	v_fma_f64 v[128:129], v[130:131], v[88:89], v[164:165]
	v_add_f64 v[130:131], v[0:1], v[20:21]
	v_add_f64 v[132:133], v[106:107], v[114:115]
	v_add_f64 v[138:139], v[20:21], -v[106:107]
	v_add_f64 v[140:141], v[124:125], -v[114:115]
	v_add_f64 v[142:143], v[20:21], v[124:125]
	v_add_f64 v[148:149], v[2:3], v[100:101]
	;; [unrolled: 1-line block ×4, first 2 shown]
	v_mul_f64 v[156:157], v[120:121], v[70:71]
	v_fma_f64 v[120:121], v[120:121], v[68:69], -v[154:155]
	v_add_f64 v[134:135], v[100:101], -v[118:119]
	v_add_f64 v[136:137], v[108:109], -v[116:117]
	;; [unrolled: 1-line block ×7, first 2 shown]
	v_add_f64 v[106:107], v[130:131], v[106:107]
	v_fma_f64 v[130:131], v[132:133], -0.5, v[0:1]
	v_add_f64 v[132:133], v[138:139], v[140:141]
	v_fma_f64 v[0:1], v[142:143], -0.5, v[0:1]
	;; [unrolled: 2-line block ×3, first 2 shown]
	v_fma_f64 v[2:3], v[158:159], -0.5, v[2:3]
	v_fma_f64 v[122:123], v[122:123], v[68:69], v[156:157]
	v_add_f64 v[146:147], v[114:115], -v[124:125]
	v_add_f64 v[156:157], v[118:119], -v[116:117]
	;; [unrolled: 1-line block ×3, first 2 shown]
	v_add_f64 v[106:107], v[106:107], v[114:115]
	v_fma_f64 v[114:115], v[134:135], s[2:3], v[130:131]
	v_fma_f64 v[130:131], v[134:135], s[16:17], v[130:131]
	;; [unrolled: 1-line block ×4, first 2 shown]
	v_add_f64 v[108:109], v[108:109], v[116:117]
	v_fma_f64 v[116:117], v[20:21], s[16:17], v[140:141]
	v_fma_f64 v[140:141], v[20:21], s[2:3], v[140:141]
	v_fma_f64 v[150:151], v[152:153], s[2:3], v[2:3]
	v_fma_f64 v[2:3], v[152:153], s[16:17], v[2:3]
	v_add_f64 v[162:163], v[4:5], v[102:103]
	v_add_f64 v[164:165], v[110:111], v[120:121]
	;; [unrolled: 1-line block ×7, first 2 shown]
	v_fma_f64 v[106:107], v[136:137], s[8:9], v[114:115]
	v_fma_f64 v[114:115], v[136:137], s[18:19], v[130:131]
	v_fma_f64 v[130:131], v[134:135], s[8:9], v[148:149]
	v_fma_f64 v[0:1], v[134:135], s[18:19], v[0:1]
	v_fma_f64 v[116:117], v[152:153], s[18:19], v[116:117]
	v_fma_f64 v[134:135], v[152:153], s[8:9], v[140:141]
	v_add_f64 v[140:141], v[108:109], v[118:119]
	v_fma_f64 v[108:109], v[20:21], s[18:19], v[150:151]
	v_fma_f64 v[2:3], v[20:21], s[8:9], v[2:3]
	v_add_f64 v[166:167], v[104:105], -v[128:129]
	v_add_f64 v[168:169], v[112:113], -v[122:123]
	v_add_f64 v[144:145], v[162:163], v[110:111]
	v_fma_f64 v[146:147], v[164:165], -0.5, v[4:5]
	v_fma_f64 v[130:131], v[138:139], s[10:11], v[130:131]
	v_fma_f64 v[0:1], v[138:139], s[10:11], v[0:1]
	;; [unrolled: 1-line block ×4, first 2 shown]
	v_fma_f64 v[4:5], v[174:175], -0.5, v[4:5]
	v_add_f64 v[116:117], v[112:113], v[122:123]
	v_fma_f64 v[134:135], v[100:101], s[10:11], v[108:109]
	v_fma_f64 v[2:3], v[100:101], s[10:11], v[2:3]
	v_add_f64 v[100:101], v[104:105], v[128:129]
	v_add_f64 v[170:171], v[102:103], -v[110:111]
	v_fma_f64 v[154:155], v[166:167], s[2:3], v[146:147]
	v_fma_f64 v[136:137], v[132:133], s[10:11], v[106:107]
	;; [unrolled: 1-line block ×3, first 2 shown]
	v_add_f64 v[20:21], v[144:145], v[120:121]
	v_fma_f64 v[108:109], v[166:167], s[16:17], v[146:147]
	v_fma_f64 v[118:119], v[168:169], s[16:17], v[4:5]
	v_fma_f64 v[116:117], v[116:117], -0.5, v[6:7]
	v_add_f64 v[132:133], v[102:103], -v[126:127]
	v_add_f64 v[144:145], v[6:7], v[104:105]
	v_add_f64 v[146:147], v[110:111], -v[120:121]
	v_fma_f64 v[6:7], v[100:101], -0.5, v[6:7]
	v_add_f64 v[100:101], v[110:111], -v[102:103]
	v_add_f64 v[102:103], v[120:121], -v[126:127]
	v_fma_f64 v[4:5], v[168:169], s[2:3], v[4:5]
	v_add_f64 v[172:173], v[126:127], -v[120:121]
	v_add_f64 v[20:21], v[20:21], v[126:127]
	v_fma_f64 v[110:111], v[132:133], s[16:17], v[116:117]
	v_add_f64 v[120:121], v[104:105], -v[112:113]
	v_add_f64 v[126:127], v[128:129], -v[122:123]
	v_add_f64 v[144:145], v[144:145], v[112:113]
	v_fma_f64 v[150:151], v[146:147], s[2:3], v[6:7]
	v_add_f64 v[104:105], v[112:113], -v[104:105]
	v_add_f64 v[112:113], v[122:123], -v[128:129]
	v_fma_f64 v[116:117], v[132:133], s[2:3], v[116:117]
	v_fma_f64 v[6:7], v[146:147], s[16:17], v[6:7]
	v_add_f64 v[100:101], v[100:101], v[102:103]
	v_fma_f64 v[4:5], v[166:167], s[18:19], v[4:5]
	v_fma_f64 v[106:107], v[168:169], s[8:9], v[154:155]
	v_add_f64 v[114:115], v[170:171], v[172:173]
	;; [unrolled: 3-line block ×3, first 2 shown]
	v_add_f64 v[104:105], v[104:105], v[112:113]
	v_add_f64 v[112:113], v[144:145], v[122:123]
	v_fma_f64 v[116:117], v[146:147], s[8:9], v[116:117]
	v_fma_f64 v[6:7], v[132:133], s[8:9], v[6:7]
	;; [unrolled: 1-line block ×7, first 2 shown]
	v_add_f64 v[122:123], v[112:113], v[128:129]
	v_fma_f64 v[112:113], v[120:121], s[10:11], v[116:117]
	v_fma_f64 v[6:7], v[104:105], s[10:11], v[6:7]
	v_mul_f64 v[118:119], v[4:5], s[10:11]
	v_fma_f64 v[102:103], v[132:133], s[18:19], v[150:151]
	v_fma_f64 v[110:111], v[120:121], s[10:11], v[110:111]
	v_mul_f64 v[120:121], v[108:109], s[20:21]
	v_add_f64 v[100:101], v[124:125], v[20:21]
	v_mul_f64 v[132:133], v[112:113], s[20:21]
	v_mul_f64 v[128:129], v[6:7], s[10:11]
	v_fma_f64 v[6:7], v[6:7], s[2:3], -v[118:119]
	v_fma_f64 v[102:103], v[104:105], s[10:11], v[102:103]
	v_mul_f64 v[116:117], v[110:111], s[8:9]
	v_fma_f64 v[146:147], v[112:113], s[8:9], -v[120:121]
	v_add_f64 v[120:121], v[124:125], -v[20:21]
	v_fma_f64 v[154:155], v[108:109], s[18:19], -v[132:133]
	v_fma_f64 v[4:5], v[4:5], s[16:17], -v[128:129]
	v_add_f64 v[112:113], v[0:1], v[6:7]
	v_add_f64 v[132:133], v[0:1], -v[6:7]
	buffer_load_dword v0, off, s[64:67], 0 offset:4 ; 4-byte Folded Reload
	v_mul_f64 v[104:105], v[102:103], s[2:3]
	v_fma_f64 v[126:127], v[106:107], s[20:21], v[116:117]
	v_mul_f64 v[106:107], v[106:107], s[18:19]
	v_mul_f64 v[116:117], v[114:115], s[16:17]
	v_add_f64 v[118:119], v[142:143], v[154:155]
	v_fma_f64 v[144:145], v[114:115], s[10:11], v[104:105]
	v_add_f64 v[104:105], v[136:137], v[126:127]
	v_fma_f64 v[150:151], v[110:111], s[20:21], v[106:107]
	v_fma_f64 v[152:153], v[102:103], s[10:11], v[116:117]
	v_add_f64 v[116:117], v[148:149], v[146:147]
	v_add_f64 v[102:103], v[140:141], v[122:123]
	;; [unrolled: 1-line block ×3, first 2 shown]
	v_add_f64 v[124:125], v[136:137], -v[126:127]
	v_add_f64 v[108:109], v[130:131], v[144:145]
	v_add_f64 v[128:129], v[130:131], -v[144:145]
	v_add_f64 v[106:107], v[138:139], v[150:151]
	v_add_f64 v[110:111], v[134:135], v[152:153]
	v_add_f64 v[136:137], v[148:149], -v[146:147]
	v_add_f64 v[122:123], v[140:141], -v[122:123]
	;; [unrolled: 1-line block ×6, first 2 shown]
	s_waitcnt vmcnt(0)
	v_lshl_add_u32 v22, v181, 4, v0
	ds_write_b128 v22, v[100:103]
	ds_write_b128 v22, v[104:107] offset:1088
	ds_write_b128 v22, v[108:111] offset:2176
	;; [unrolled: 1-line block ×9, first 2 shown]
	s_waitcnt lgkmcnt(0)
	s_barrier
	s_and_saveexec_b64 s[8:9], vcc
	s_cbranch_execz .LBB0_13
; %bb.12:
	buffer_load_dword v9, off, s[64:67], 0 offset:8 ; 4-byte Folded Reload
	s_add_u32 s10, s12, 0x2a80
	s_addc_u32 s11, s13, 0
	ds_read_b128 v[2:5], v22
	v_mov_b32_e32 v1, s11
	s_waitcnt vmcnt(0)
	global_load_dwordx4 v[140:143], v9, s[10:11]
	v_add_co_u32_e64 v0, s[2:3], s10, v9
	v_addc_co_u32_e64 v1, s[2:3], 0, v1, s[2:3]
	s_movk_i32 s2, 0x1000
	v_or_b32_e32 v8, 0x1400, v9
	s_waitcnt vmcnt(0) lgkmcnt(0)
	v_mul_f64 v[6:7], v[4:5], v[142:143]
	v_fma_f64 v[144:145], v[2:3], v[140:141], -v[6:7]
	v_mul_f64 v[2:3], v[2:3], v[142:143]
	v_fma_f64 v[146:147], v[4:5], v[140:141], v[2:3]
	global_load_dwordx4 v[140:143], v9, s[10:11] offset:640
	ds_read_b128 v[2:5], v22 offset:640
	ds_write_b128 v22, v[144:147]
	s_waitcnt vmcnt(0) lgkmcnt(1)
	v_mul_f64 v[6:7], v[4:5], v[142:143]
	v_fma_f64 v[144:145], v[2:3], v[140:141], -v[6:7]
	v_mul_f64 v[2:3], v[2:3], v[142:143]
	v_fma_f64 v[146:147], v[4:5], v[140:141], v[2:3]
	global_load_dwordx4 v[140:143], v9, s[10:11] offset:1280
	ds_read_b128 v[2:5], v22 offset:1280
	ds_write_b128 v22, v[144:147] offset:640
	s_waitcnt vmcnt(0) lgkmcnt(1)
	v_mul_f64 v[6:7], v[4:5], v[142:143]
	v_fma_f64 v[144:145], v[2:3], v[140:141], -v[6:7]
	v_mul_f64 v[2:3], v[2:3], v[142:143]
	v_fma_f64 v[146:147], v[4:5], v[140:141], v[2:3]
	global_load_dwordx4 v[140:143], v9, s[10:11] offset:1920
	ds_read_b128 v[2:5], v22 offset:1920
	ds_write_b128 v22, v[144:147] offset:1280
	;; [unrolled: 8-line block ×5, first 2 shown]
	s_waitcnt vmcnt(0) lgkmcnt(1)
	v_mul_f64 v[6:7], v[4:5], v[142:143]
	v_fma_f64 v[144:145], v[2:3], v[140:141], -v[6:7]
	v_mul_f64 v[2:3], v[2:3], v[142:143]
	v_add_co_u32_e64 v6, s[2:3], s2, v0
	v_addc_co_u32_e64 v7, s[2:3], 0, v1, s[2:3]
	s_movk_i32 s2, 0x2000
	v_fma_f64 v[146:147], v[4:5], v[140:141], v[2:3]
	global_load_dwordx4 v[140:143], v[6:7], off offset:384
	ds_read_b128 v[2:5], v22 offset:4480
	ds_write_b128 v22, v[144:147] offset:3840
	s_waitcnt vmcnt(0) lgkmcnt(1)
	v_mul_f64 v[20:21], v[4:5], v[142:143]
	v_fma_f64 v[144:145], v[2:3], v[140:141], -v[20:21]
	v_mul_f64 v[2:3], v[2:3], v[142:143]
	v_fma_f64 v[146:147], v[4:5], v[140:141], v[2:3]
	global_load_dwordx4 v[140:143], v8, s[10:11]
	ds_read_b128 v[2:5], v22 offset:5120
	ds_write_b128 v22, v[144:147] offset:4480
	s_waitcnt vmcnt(0) lgkmcnt(1)
	v_mul_f64 v[20:21], v[4:5], v[142:143]
	v_fma_f64 v[144:145], v[2:3], v[140:141], -v[20:21]
	v_mul_f64 v[2:3], v[2:3], v[142:143]
	v_fma_f64 v[146:147], v[4:5], v[140:141], v[2:3]
	global_load_dwordx4 v[140:143], v[6:7], off offset:1664
	ds_read_b128 v[2:5], v22 offset:5760
	ds_write_b128 v22, v[144:147] offset:5120
	s_waitcnt vmcnt(0) lgkmcnt(1)
	v_mul_f64 v[20:21], v[4:5], v[142:143]
	v_fma_f64 v[144:145], v[2:3], v[140:141], -v[20:21]
	v_mul_f64 v[2:3], v[2:3], v[142:143]
	v_fma_f64 v[146:147], v[4:5], v[140:141], v[2:3]
	global_load_dwordx4 v[140:143], v[6:7], off offset:2304
	;; [unrolled: 8-line block ×3, first 2 shown]
	ds_read_b128 v[2:5], v22 offset:7040
	ds_write_b128 v22, v[144:147] offset:6400
	s_waitcnt vmcnt(0) lgkmcnt(1)
	v_mul_f64 v[20:21], v[4:5], v[142:143]
	v_fma_f64 v[144:145], v[2:3], v[140:141], -v[20:21]
	v_mul_f64 v[2:3], v[2:3], v[142:143]
	v_add_co_u32_e64 v20, s[2:3], s2, v0
	v_addc_co_u32_e64 v21, s[2:3], 0, v1, s[2:3]
	v_fma_f64 v[146:147], v[4:5], v[140:141], v[2:3]
	global_load_dwordx4 v[140:143], v[6:7], off offset:3584
	ds_read_b128 v[2:5], v22 offset:7680
	ds_write_b128 v22, v[144:147] offset:7040
	s_waitcnt vmcnt(0) lgkmcnt(1)
	v_mul_f64 v[6:7], v[4:5], v[142:143]
	v_fma_f64 v[144:145], v[2:3], v[140:141], -v[6:7]
	v_mul_f64 v[2:3], v[2:3], v[142:143]
	v_fma_f64 v[146:147], v[4:5], v[140:141], v[2:3]
	global_load_dwordx4 v[140:143], v[20:21], off offset:128
	ds_read_b128 v[2:5], v22 offset:8320
	ds_write_b128 v22, v[144:147] offset:7680
	s_waitcnt vmcnt(0) lgkmcnt(1)
	v_mul_f64 v[0:1], v[4:5], v[142:143]
	v_fma_f64 v[0:1], v[2:3], v[140:141], -v[0:1]
	v_mul_f64 v[2:3], v[2:3], v[142:143]
	v_fma_f64 v[2:3], v[4:5], v[140:141], v[2:3]
	global_load_dwordx4 v[4:7], v[20:21], off offset:768
	ds_write_b128 v22, v[0:3] offset:8320
	ds_read_b128 v[0:3], v22 offset:8960
	s_waitcnt vmcnt(0) lgkmcnt(0)
	v_mul_f64 v[140:141], v[2:3], v[6:7]
	v_fma_f64 v[140:141], v[0:1], v[4:5], -v[140:141]
	v_mul_f64 v[0:1], v[0:1], v[6:7]
	v_fma_f64 v[142:143], v[2:3], v[4:5], v[0:1]
	global_load_dwordx4 v[4:7], v[20:21], off offset:1408
	ds_read_b128 v[0:3], v22 offset:9600
	ds_write_b128 v22, v[140:143] offset:8960
	s_waitcnt vmcnt(0) lgkmcnt(1)
	v_mul_f64 v[20:21], v[2:3], v[6:7]
	v_fma_f64 v[140:141], v[0:1], v[4:5], -v[20:21]
	v_mul_f64 v[0:1], v[0:1], v[6:7]
	v_fma_f64 v[142:143], v[2:3], v[4:5], v[0:1]
	v_or_b32_e32 v4, 0x2800, v9
	global_load_dwordx4 v[4:7], v4, s[10:11]
	ds_read_b128 v[0:3], v22 offset:10240
	ds_write_b128 v22, v[140:143] offset:9600
	s_waitcnt vmcnt(0) lgkmcnt(1)
	v_mul_f64 v[20:21], v[2:3], v[6:7]
	v_fma_f64 v[140:141], v[0:1], v[4:5], -v[20:21]
	v_mul_f64 v[0:1], v[0:1], v[6:7]
	v_fma_f64 v[142:143], v[2:3], v[4:5], v[0:1]
	ds_write_b128 v22, v[140:143] offset:10240
.LBB0_13:
	s_or_b64 exec, exec, s[8:9]
	s_waitcnt lgkmcnt(0)
	s_barrier
	s_and_saveexec_b64 s[2:3], vcc
	s_cbranch_execz .LBB0_15
; %bb.14:
	ds_read_b128 v[100:103], v22
	ds_read_b128 v[104:107], v22 offset:640
	ds_read_b128 v[108:111], v22 offset:1280
	;; [unrolled: 1-line block ×16, first 2 shown]
.LBB0_15:
	s_or_b64 exec, exec, s[2:3]
	s_waitcnt lgkmcnt(1)
	v_add_f64 v[185:186], v[16:17], v[110:111]
	s_mov_b32 s24, 0x2b2883cd
	s_mov_b32 s25, 0x3fdc86fa
	s_waitcnt lgkmcnt(0)
	v_add_f64 v[8:9], v[106:107], -v[12:13]
	s_mov_b32 s10, 0x6c9a05f6
	s_mov_b32 s11, 0xbfe9895b
	v_add_f64 v[177:178], v[10:11], v[104:105]
	v_add_f64 v[179:180], v[12:13], v[106:107]
	v_mul_f64 v[24:25], v[185:186], s[24:25]
	v_add_f64 v[156:157], v[110:111], -v[16:17]
	s_mov_b32 s2, 0x6ed5f1bb
	v_mul_f64 v[160:161], v[8:9], s[10:11]
	s_mov_b32 s36, 0x923c349f
	s_mov_b32 s3, 0xbfe348c8
	;; [unrolled: 1-line block ×3, first 2 shown]
	v_add_f64 v[187:188], v[104:105], -v[10:11]
	buffer_store_dword v24, off, s[64:67], 0 offset:92 ; 4-byte Folded Spill
	s_nop 0
	buffer_store_dword v25, off, s[64:67], 0 offset:96 ; 4-byte Folded Spill
	v_mul_f64 v[197:198], v[179:180], s[2:3]
	v_add_f64 v[183:184], v[14:15], v[108:109]
	v_fma_f64 v[0:1], v[177:178], s[2:3], -v[160:161]
	v_mul_f64 v[247:248], v[156:157], s[36:37]
	s_mov_b32 s18, 0x4363dd80
	s_mov_b32 s22, 0xc61f0d01
	;; [unrolled: 1-line block ×4, first 2 shown]
	v_fma_f64 v[2:3], v[187:188], s[10:11], v[197:198]
	v_mul_f64 v[253:254], v[8:9], s[18:19]
	v_add_f64 v[0:1], v[100:101], v[0:1]
	v_add_f64 v[223:224], v[108:109], -v[14:15]
	v_mul_f64 v[249:250], v[185:186], s[22:23]
	v_fma_f64 v[146:147], v[183:184], s[22:23], -v[247:248]
	s_mov_b32 s8, 0x910ea3b9
	s_mov_b32 s38, 0x7c9e640b
	;; [unrolled: 1-line block ×4, first 2 shown]
	v_add_f64 v[2:3], v[102:103], v[2:3]
	v_fma_f64 v[4:5], v[177:178], s[8:9], -v[253:254]
	v_mul_f64 v[251:252], v[156:157], s[38:39]
	v_add_f64 v[0:1], v[146:147], v[0:1]
	v_fma_f64 v[146:147], v[223:224], s[36:37], v[249:250]
	v_add_f64 v[158:159], v[114:115], -v[34:35]
	s_mov_b32 s40, 0x5d8e7cdc
	s_mov_b32 s41, 0x3fd71e95
	;; [unrolled: 1-line block ×3, first 2 shown]
	v_add_f64 v[4:5], v[100:101], v[4:5]
	s_mov_b32 s28, s40
	v_mul_f64 v[245:246], v[179:180], s[8:9]
	v_add_f64 v[2:3], v[146:147], v[2:3]
	v_fma_f64 v[146:147], v[183:184], s[24:25], -v[251:252]
	s_mov_b32 s20, 0xacd6c6b4
	s_mov_b32 s21, 0xbfc7851a
	v_mul_f64 v[20:21], v[8:9], s[20:21]
	s_mov_b32 s16, 0x7faef3
	s_mov_b32 s17, 0xbfef7484
	v_fma_f64 v[6:7], v[187:188], s[18:19], v[245:246]
	s_mov_b32 s26, 0x370991
	v_add_f64 v[4:5], v[146:147], v[4:5]
	s_mov_b32 s27, 0x3fedd6d0
	v_mul_f64 v[142:143], v[179:180], s[16:17]
	v_fma_f64 v[140:141], v[177:178], s[16:17], v[20:21]
	v_fma_f64 v[20:21], v[177:178], s[16:17], -v[20:21]
	v_add_f64 v[193:194], v[114:115], v[34:35]
	v_add_f64 v[6:7], v[102:103], v[6:7]
	s_mov_b32 s43, 0x3fc7851a
	s_mov_b32 s42, s20
	v_add_f64 v[191:192], v[112:113], v[32:33]
	v_fma_f64 v[144:145], v[187:188], s[42:43], v[142:143]
	v_add_f64 v[140:141], v[100:101], v[140:141]
	v_add_f64 v[20:21], v[100:101], v[20:21]
	v_fma_f64 v[142:143], v[187:188], s[20:21], v[142:143]
	v_mul_f64 v[26:27], v[193:194], s[26:27]
	s_mov_b32 s30, 0x3259b75e
	s_mov_b32 s31, 0x3fb79ee6
	v_add_f64 v[199:200], v[112:113], -v[32:33]
	s_mov_b32 s34, 0xeb564b22
	s_mov_b32 s35, 0xbfefdd0d
	v_mul_f64 v[164:165], v[158:159], s[34:35]
	v_add_f64 v[142:143], v[102:103], v[142:143]
	v_add_f64 v[205:206], v[118:119], -v[38:39]
	v_add_f64 v[203:204], v[118:119], v[38:39]
	v_add_f64 v[201:202], v[116:117], v[36:37]
	s_mov_b32 s59, 0x3fe9895b
	s_mov_b32 s58, s10
	v_add_f64 v[207:208], v[116:117], -v[36:37]
	v_add_f64 v[211:212], v[42:43], v[122:123]
	s_mov_b32 s52, 0x2a9d6da3
	s_mov_b32 s53, 0x3fe58eea
	v_add_f64 v[144:145], v[102:103], v[144:145]
	s_mov_b32 s44, 0x75d4884
	s_mov_b32 s49, 0x3fe0d888
	;; [unrolled: 1-line block ×4, first 2 shown]
	v_add_f64 v[215:216], v[122:123], -v[42:43]
	s_mov_b32 s61, 0x3fefdd0d
	s_mov_b32 s60, s34
	v_fma_f64 v[146:147], v[223:224], s[38:39], v[24:25]
	v_mul_f64 v[24:25], v[158:159], s[28:29]
	v_add_f64 v[209:210], v[40:41], v[120:121]
	v_add_f64 v[213:214], v[120:121], -v[40:41]
	v_mul_f64 v[166:167], v[211:212], s[30:31]
	v_mul_f64 v[162:163], v[215:216], s[60:61]
	;; [unrolled: 1-line block ×3, first 2 shown]
	v_add_f64 v[28:29], v[126:127], -v[94:95]
	buffer_store_dword v24, off, s[64:67], 0 offset:100 ; 4-byte Folded Spill
	s_nop 0
	buffer_store_dword v25, off, s[64:67], 0 offset:104 ; 4-byte Folded Spill
	v_add_f64 v[6:7], v[146:147], v[6:7]
	v_mul_f64 v[146:147], v[156:157], s[40:41]
	buffer_store_dword v26, off, s[64:67], 0 offset:116 ; 4-byte Folded Spill
	s_nop 0
	buffer_store_dword v27, off, s[64:67], 0 offset:120 ; 4-byte Folded Spill
	s_mov_b32 s47, 0xbfe58eea
	s_mov_b32 s46, s52
	v_add_f64 v[219:220], v[94:95], v[126:127]
	v_add_f64 v[217:218], v[92:93], v[124:125]
	v_add_f64 v[221:222], v[124:125], -v[92:93]
	v_add_f64 v[231:232], v[130:131], -v[98:99]
	v_fma_f64 v[148:149], v[183:184], s[26:27], v[146:147]
	v_fma_f64 v[146:147], v[183:184], s[26:27], -v[146:147]
	v_add_f64 v[225:226], v[128:129], v[96:97]
	v_add_f64 v[227:228], v[130:131], v[98:99]
	v_add_f64 v[229:230], v[128:129], -v[96:97]
	s_mov_b32 s51, 0xbfeca52d
	s_mov_b32 s50, s38
	v_mul_f64 v[170:171], v[231:232], s[20:21]
	v_add_f64 v[140:141], v[148:149], v[140:141]
	v_mul_f64 v[148:149], v[185:186], s[26:27]
	v_add_f64 v[20:21], v[146:147], v[20:21]
	v_mul_f64 v[172:173], v[227:228], s[16:17]
	v_mul_f64 v[174:175], v[231:232], s[52:53]
	s_mov_b32 s55, 0xbfeec746
	s_mov_b32 s54, s36
	v_add_f64 v[239:240], v[134:135], -v[138:139]
	v_add_f64 v[233:234], v[132:133], v[136:137]
	v_fma_f64 v[146:147], v[223:224], s[40:41], v[148:149]
	v_fma_f64 v[150:151], v[223:224], s[28:29], v[148:149]
	v_add_f64 v[235:236], v[134:135], v[138:139]
	v_add_f64 v[237:238], v[132:133], -v[136:137]
	v_add_f64 v[142:143], v[146:147], v[142:143]
	v_add_f64 v[144:145], v[150:151], v[144:145]
	v_fma_f64 v[146:147], v[191:192], s[26:27], -v[24:25]
	v_mul_f64 v[24:25], v[193:194], s[30:31]
	buffer_store_dword v24, off, s[64:67], 0 offset:140 ; 4-byte Folded Spill
	s_nop 0
	buffer_store_dword v25, off, s[64:67], 0 offset:144 ; 4-byte Folded Spill
	v_add_f64 v[0:1], v[146:147], v[0:1]
	v_fma_f64 v[146:147], v[199:200], s[28:29], v[26:27]
	v_mul_f64 v[26:27], v[203:204], s[8:9]
	v_add_f64 v[2:3], v[146:147], v[2:3]
	v_fma_f64 v[146:147], v[191:192], s[30:31], -v[164:165]
	v_add_f64 v[4:5], v[146:147], v[4:5]
	v_fma_f64 v[146:147], v[199:200], s[34:35], v[24:25]
	v_mul_f64 v[24:25], v[205:206], s[18:19]
	buffer_store_dword v24, off, s[64:67], 0 offset:132 ; 4-byte Folded Spill
	s_nop 0
	buffer_store_dword v25, off, s[64:67], 0 offset:136 ; 4-byte Folded Spill
	buffer_store_dword v26, off, s[64:67], 0 offset:148 ; 4-byte Folded Spill
	s_nop 0
	buffer_store_dword v27, off, s[64:67], 0 offset:152 ; 4-byte Folded Spill
	v_add_f64 v[6:7], v[146:147], v[6:7]
	v_mul_f64 v[146:147], v[158:159], s[18:19]
	v_fma_f64 v[148:149], v[191:192], s[8:9], v[146:147]
	v_fma_f64 v[146:147], v[191:192], s[8:9], -v[146:147]
	v_add_f64 v[140:141], v[148:149], v[140:141]
	v_mul_f64 v[148:149], v[193:194], s[8:9]
	v_add_f64 v[20:21], v[146:147], v[20:21]
	v_fma_f64 v[146:147], v[199:200], s[18:19], v[148:149]
	v_fma_f64 v[150:151], v[199:200], s[48:49], v[148:149]
	v_add_f64 v[142:143], v[146:147], v[142:143]
	v_add_f64 v[144:145], v[150:151], v[144:145]
	v_fma_f64 v[146:147], v[201:202], s[8:9], -v[24:25]
	v_mul_f64 v[24:25], v[205:206], s[58:59]
	buffer_store_dword v24, off, s[64:67], 0 offset:156 ; 4-byte Folded Spill
	s_nop 0
	buffer_store_dword v25, off, s[64:67], 0 offset:160 ; 4-byte Folded Spill
	v_add_f64 v[0:1], v[146:147], v[0:1]
	v_fma_f64 v[146:147], v[207:208], s[18:19], v[26:27]
	v_mul_f64 v[26:27], v[203:204], s[2:3]
	buffer_store_dword v26, off, s[64:67], 0 offset:164 ; 4-byte Folded Spill
	s_nop 0
	buffer_store_dword v27, off, s[64:67], 0 offset:168 ; 4-byte Folded Spill
	v_add_f64 v[2:3], v[146:147], v[2:3]
	v_fma_f64 v[146:147], v[201:202], s[2:3], -v[24:25]
	v_mul_f64 v[24:25], v[211:212], s[26:27]
	buffer_store_dword v24, off, s[64:67], 0 offset:172 ; 4-byte Folded Spill
	s_nop 0
	buffer_store_dword v25, off, s[64:67], 0 offset:176 ; 4-byte Folded Spill
	v_add_f64 v[4:5], v[146:147], v[4:5]
	v_fma_f64 v[146:147], v[207:208], s[58:59], v[26:27]
	v_mul_f64 v[26:27], v[219:220], s[44:45]
	v_add_f64 v[6:7], v[146:147], v[6:7]
	v_mul_f64 v[146:147], v[205:206], s[52:53]
	v_fma_f64 v[148:149], v[201:202], s[44:45], v[146:147]
	v_fma_f64 v[146:147], v[201:202], s[44:45], -v[146:147]
	v_add_f64 v[140:141], v[148:149], v[140:141]
	v_mul_f64 v[148:149], v[203:204], s[44:45]
	v_add_f64 v[20:21], v[146:147], v[20:21]
	v_fma_f64 v[146:147], v[207:208], s[52:53], v[148:149]
	v_fma_f64 v[150:151], v[207:208], s[46:47], v[148:149]
	v_add_f64 v[142:143], v[146:147], v[142:143]
	v_fma_f64 v[146:147], v[209:210], s[30:31], -v[162:163]
	v_add_f64 v[144:145], v[150:151], v[144:145]
	v_add_f64 v[0:1], v[146:147], v[0:1]
	v_fma_f64 v[146:147], v[213:214], s[60:61], v[166:167]
	v_add_f64 v[2:3], v[146:147], v[2:3]
	v_fma_f64 v[146:147], v[209:210], s[26:27], -v[168:169]
	v_add_f64 v[4:5], v[146:147], v[4:5]
	v_fma_f64 v[146:147], v[213:214], s[28:29], v[24:25]
	v_mul_f64 v[24:25], v[28:29], s[46:47]
	buffer_store_dword v24, off, s[64:67], 0 offset:180 ; 4-byte Folded Spill
	s_nop 0
	buffer_store_dword v25, off, s[64:67], 0 offset:184 ; 4-byte Folded Spill
	buffer_store_dword v26, off, s[64:67], 0 offset:188 ; 4-byte Folded Spill
	s_nop 0
	buffer_store_dword v27, off, s[64:67], 0 offset:192 ; 4-byte Folded Spill
	v_add_f64 v[6:7], v[146:147], v[6:7]
	v_mul_f64 v[146:147], v[215:216], s[10:11]
	v_fma_f64 v[148:149], v[209:210], s[2:3], v[146:147]
	v_fma_f64 v[146:147], v[209:210], s[2:3], -v[146:147]
	v_add_f64 v[140:141], v[148:149], v[140:141]
	v_mul_f64 v[148:149], v[211:212], s[2:3]
	v_add_f64 v[20:21], v[146:147], v[20:21]
	v_fma_f64 v[146:147], v[213:214], s[10:11], v[148:149]
	v_fma_f64 v[150:151], v[213:214], s[58:59], v[148:149]
	v_add_f64 v[142:143], v[146:147], v[142:143]
	v_add_f64 v[144:145], v[150:151], v[144:145]
	v_fma_f64 v[146:147], v[217:218], s[44:45], -v[24:25]
	v_mul_f64 v[24:25], v[28:29], s[20:21]
	buffer_store_dword v24, off, s[64:67], 0 offset:196 ; 4-byte Folded Spill
	s_nop 0
	buffer_store_dword v25, off, s[64:67], 0 offset:200 ; 4-byte Folded Spill
	v_add_f64 v[0:1], v[146:147], v[0:1]
	v_fma_f64 v[146:147], v[221:222], s[46:47], v[26:27]
	v_mul_f64 v[26:27], v[219:220], s[16:17]
	buffer_store_dword v26, off, s[64:67], 0 offset:204 ; 4-byte Folded Spill
	s_nop 0
	buffer_store_dword v27, off, s[64:67], 0 offset:208 ; 4-byte Folded Spill
	v_add_f64 v[2:3], v[146:147], v[2:3]
	s_waitcnt vmcnt(0)
	s_barrier
	v_fma_f64 v[146:147], v[217:218], s[16:17], -v[24:25]
	v_add_f64 v[4:5], v[146:147], v[4:5]
	v_fma_f64 v[146:147], v[221:222], s[20:21], v[26:27]
	v_add_f64 v[6:7], v[146:147], v[6:7]
	v_mul_f64 v[146:147], v[28:29], s[38:39]
	v_mul_f64 v[28:29], v[235:236], s[30:31]
	v_fma_f64 v[148:149], v[217:218], s[24:25], v[146:147]
	v_fma_f64 v[146:147], v[217:218], s[24:25], -v[146:147]
	v_fma_f64 v[30:31], v[237:238], s[34:35], v[28:29]
	v_add_f64 v[140:141], v[148:149], v[140:141]
	v_mul_f64 v[148:149], v[219:220], s[24:25]
	v_add_f64 v[20:21], v[146:147], v[20:21]
	v_fma_f64 v[146:147], v[221:222], s[38:39], v[148:149]
	v_fma_f64 v[150:151], v[221:222], s[50:51], v[148:149]
	v_add_f64 v[142:143], v[146:147], v[142:143]
	v_fma_f64 v[146:147], v[225:226], s[16:17], -v[170:171]
	v_add_f64 v[144:145], v[150:151], v[144:145]
	v_add_f64 v[146:147], v[146:147], v[0:1]
	v_fma_f64 v[0:1], v[229:230], s[20:21], v[172:173]
	v_add_f64 v[148:149], v[0:1], v[2:3]
	v_mul_f64 v[0:1], v[227:228], s[44:45]
	v_fma_f64 v[2:3], v[225:226], s[44:45], -v[174:175]
	v_add_f64 v[150:151], v[2:3], v[4:5]
	v_fma_f64 v[2:3], v[229:230], s[52:53], v[0:1]
	v_add_f64 v[152:153], v[2:3], v[6:7]
	v_mul_f64 v[2:3], v[231:232], s[54:55]
	v_fma_f64 v[4:5], v[225:226], s[22:23], v[2:3]
	v_fma_f64 v[2:3], v[225:226], s[22:23], -v[2:3]
	v_add_f64 v[140:141], v[4:5], v[140:141]
	v_mul_f64 v[4:5], v[227:228], s[22:23]
	v_add_f64 v[24:25], v[2:3], v[20:21]
	v_mul_f64 v[20:21], v[235:236], s[22:23]
	v_fma_f64 v[2:3], v[229:230], s[54:55], v[4:5]
	v_fma_f64 v[6:7], v[229:230], s[36:37], v[4:5]
	v_mul_f64 v[4:5], v[235:236], s[24:25]
	v_add_f64 v[26:27], v[2:3], v[142:143]
	v_mul_f64 v[2:3], v[239:240], s[38:39]
	v_add_f64 v[154:155], v[6:7], v[144:145]
	v_fma_f64 v[6:7], v[233:234], s[24:25], -v[2:3]
	v_add_f64 v[144:145], v[6:7], v[146:147]
	v_fma_f64 v[6:7], v[237:238], s[38:39], v[4:5]
	v_add_f64 v[146:147], v[6:7], v[148:149]
	v_mul_f64 v[6:7], v[239:240], s[54:55]
	v_fma_f64 v[142:143], v[233:234], s[22:23], -v[6:7]
	v_add_f64 v[148:149], v[142:143], v[150:151]
	v_fma_f64 v[142:143], v[237:238], s[54:55], v[20:21]
	v_add_f64 v[150:151], v[142:143], v[152:153]
	v_mul_f64 v[152:153], v[239:240], s[60:61]
	v_fma_f64 v[142:143], v[233:234], s[30:31], v[152:153]
	v_add_f64 v[140:141], v[142:143], v[140:141]
	v_add_f64 v[142:143], v[30:31], v[154:155]
	v_fma_f64 v[30:31], v[233:234], s[30:31], -v[152:153]
	v_add_f64 v[152:153], v[30:31], v[24:25]
	v_fma_f64 v[24:25], v[237:238], s[60:61], v[28:29]
	v_add_f64 v[154:155], v[24:25], v[26:27]
	s_and_saveexec_b64 s[56:57], vcc
	s_cbranch_execz .LBB0_17
; %bb.16:
	buffer_store_dword v8, off, s[64:67], 0 offset:324 ; 4-byte Folded Spill
	s_nop 0
	buffer_store_dword v9, off, s[64:67], 0 offset:328 ; 4-byte Folded Spill
	v_mul_f64 v[8:9], v[183:184], s[22:23]
	buffer_store_dword v10, off, s[64:67], 0 offset:236 ; 4-byte Folded Spill
	s_nop 0
	buffer_store_dword v11, off, s[64:67], 0 offset:240 ; 4-byte Folded Spill
	buffer_store_dword v12, off, s[64:67], 0 offset:244 ; 4-byte Folded Spill
	buffer_store_dword v13, off, s[64:67], 0 offset:248 ; 4-byte Folded Spill
	buffer_store_dword v14, off, s[64:67], 0 offset:252 ; 4-byte Folded Spill
	s_nop 0
	buffer_store_dword v15, off, s[64:67], 0 offset:256 ; 4-byte Folded Spill
	buffer_store_dword v16, off, s[64:67], 0 offset:260 ; 4-byte Folded Spill
	buffer_store_dword v17, off, s[64:67], 0 offset:264 ; 4-byte Folded Spill
	;; [unrolled: 5-line block ×3, first 2 shown]
	buffer_store_dword v18, off, s[64:67], 0 offset:268 ; 4-byte Folded Spill
	buffer_store_dword v205, off, s[64:67], 0 offset:332 ; 4-byte Folded Spill
	s_nop 0
	buffer_store_dword v206, off, s[64:67], 0 offset:336 ; 4-byte Folded Spill
	buffer_store_dword v182, off, s[64:67], 0 offset:276 ; 4-byte Folded Spill
	buffer_load_dword v181, off, s[64:67], 0 offset:92 ; 4-byte Folded Reload
	s_nop 0
	buffer_load_dword v182, off, s[64:67], 0 offset:96 ; 4-byte Folded Reload
	s_nop 0
	buffer_store_dword v40, off, s[64:67], 0 offset:300 ; 4-byte Folded Spill
	s_nop 0
	buffer_store_dword v41, off, s[64:67], 0 offset:304 ; 4-byte Folded Spill
	buffer_store_dword v42, off, s[64:67], 0 offset:308 ; 4-byte Folded Spill
	;; [unrolled: 1-line block ×5, first 2 shown]
	s_nop 0
	buffer_store_dword v216, off, s[64:67], 0 offset:320 ; 4-byte Folded Spill
	buffer_load_dword v40, off, s[64:67], 0 offset:140 ; 4-byte Folded Reload
	buffer_load_dword v41, off, s[64:67], 0 offset:144 ; 4-byte Folded Reload
	s_nop 0
	buffer_store_dword v189, off, s[64:67], 0 offset:140 ; 4-byte Folded Spill
	buffer_store_dword v190, off, s[64:67], 0 offset:228 ; 4-byte Folded Spill
	;; [unrolled: 1-line block ×3, first 2 shown]
	s_nop 0
	buffer_store_dword v33, off, s[64:67], 0 offset:288 ; 4-byte Folded Spill
	buffer_store_dword v34, off, s[64:67], 0 offset:292 ; 4-byte Folded Spill
	;; [unrolled: 1-line block ×3, first 2 shown]
	v_add_f64 v[8:9], v[8:9], v[247:248]
	buffer_load_dword v247, off, s[64:67], 0 offset:116 ; 4-byte Folded Reload
	buffer_load_dword v248, off, s[64:67], 0 offset:120 ; 4-byte Folded Reload
	v_mul_f64 v[28:29], v[187:188], s[10:11]
	v_mul_f64 v[30:31], v[177:178], s[8:9]
	;; [unrolled: 1-line block ×6, first 2 shown]
	buffer_store_dword v36, off, s[64:67], 0 offset:116 ; 4-byte Folded Spill
	s_nop 0
	buffer_store_dword v37, off, s[64:67], 0 offset:120 ; 4-byte Folded Spill
	buffer_store_dword v38, off, s[64:67], 0 offset:124 ; 4-byte Folded Spill
	;; [unrolled: 1-line block ×3, first 2 shown]
	buffer_load_dword v38, off, s[64:67], 0 offset:164 ; 4-byte Folded Reload
	s_nop 0
	buffer_load_dword v39, off, s[64:67], 0 offset:168 ; 4-byte Folded Reload
	v_add_f64 v[28:29], v[197:198], -v[28:29]
	v_add_f64 v[30:31], v[30:31], v[253:254]
	v_add_f64 v[10:11], v[249:250], -v[10:11]
	v_add_f64 v[12:13], v[12:13], v[251:252]
	v_mul_f64 v[24:25], v[187:188], s[18:19]
	v_add_f64 v[18:19], v[18:19], v[164:165]
	v_mul_f64 v[14:15], v[223:224], s[38:39]
	v_mul_f64 v[26:27], v[177:178], s[2:3]
	v_add_f64 v[28:29], v[102:103], v[28:29]
	v_add_f64 v[30:31], v[100:101], v[30:31]
	v_mul_f64 v[243:244], v[199:200], s[34:35]
	v_mul_f64 v[241:242], v[191:192], s[26:27]
	v_add_f64 v[24:25], v[245:246], -v[24:25]
	v_mul_f64 v[205:206], v[207:208], s[18:19]
	v_mul_f64 v[245:246], v[201:202], s[8:9]
	v_add_f64 v[26:27], v[26:27], v[160:161]
	v_add_f64 v[10:11], v[10:11], v[28:29]
	;; [unrolled: 1-line block ×3, first 2 shown]
	v_mov_b32_e32 v196, v188
	v_mov_b32_e32 v195, v187
	v_add_f64 v[24:25], v[102:103], v[24:25]
	v_mov_b32_e32 v188, v180
	v_mov_b32_e32 v187, v179
	v_add_f64 v[26:27], v[100:101], v[26:27]
	v_mul_f64 v[179:180], v[201:202], s[2:3]
	v_add_f64 v[12:13], v[18:19], v[12:13]
	v_mul_f64 v[253:254], v[209:210], s[26:27]
	v_mov_b32_e32 v252, v159
	v_mul_f64 v[189:190], v[213:214], s[60:61]
	v_mov_b32_e32 v251, v158
	v_mul_f64 v[158:159], v[217:218], s[16:17]
	v_add_f64 v[8:9], v[8:9], v[26:27]
	v_mul_f64 v[160:161], v[221:222], s[20:21]
	v_mul_f64 v[197:198], v[221:222], s[46:47]
	;; [unrolled: 1-line block ×7, first 2 shown]
	v_mov_b32_e32 v165, v157
	v_mov_b32_e32 v164, v156
	v_mul_f64 v[156:157], v[217:218], s[44:45]
	v_mul_f64 v[32:33], v[225:226], s[16:17]
	v_add_f64 v[0:1], v[0:1], -v[36:37]
	v_mul_f64 v[28:29], v[233:234], s[24:25]
	v_add_f64 v[20:21], v[20:21], -v[26:27]
	v_add_f64 v[106:107], v[102:103], v[106:107]
	v_add_f64 v[104:105], v[100:101], v[104:105]
	v_mul_f64 v[249:250], v[239:240], s[40:41]
	v_add_f64 v[2:3], v[28:29], v[2:3]
	v_mul_f64 v[28:29], v[207:208], s[50:51]
	v_add_f64 v[104:105], v[108:109], v[104:105]
	s_waitcnt vmcnt(23)
	v_add_f64 v[14:15], v[181:182], -v[14:15]
	v_mul_f64 v[181:182], v[207:208], s[58:59]
	v_add_f64 v[104:105], v[112:113], v[104:105]
	s_waitcnt vmcnt(14)
	v_add_f64 v[243:244], v[40:41], -v[243:244]
	v_mul_f64 v[40:41], v[233:234], s[22:23]
	s_waitcnt vmcnt(6)
	v_add_f64 v[16:17], v[247:248], -v[16:17]
	buffer_load_dword v247, off, s[64:67], 0 offset:100 ; 4-byte Folded Reload
	buffer_load_dword v248, off, s[64:67], 0 offset:104 ; 4-byte Folded Reload
	;; [unrolled: 1-line block ×6, first 2 shown]
	v_add_f64 v[14:15], v[14:15], v[24:25]
	v_mul_f64 v[24:25], v[213:214], s[28:29]
	v_add_f64 v[6:7], v[40:41], v[6:7]
	v_add_f64 v[104:105], v[116:117], v[104:105]
	;; [unrolled: 1-line block ×3, first 2 shown]
	buffer_load_dword v16, off, s[64:67], 0 offset:172 ; 4-byte Folded Reload
	buffer_load_dword v17, off, s[64:67], 0 offset:176 ; 4-byte Folded Reload
	s_waitcnt vmcnt(8)
	v_add_f64 v[38:39], v[38:39], -v[181:182]
	v_mul_f64 v[181:182], v[237:238], s[38:39]
	v_add_f64 v[14:15], v[243:244], v[14:15]
	v_add_f64 v[104:105], v[120:121], v[104:105]
	v_add_f64 v[4:5], v[4:5], -v[181:182]
	v_add_f64 v[14:15], v[38:39], v[14:15]
	v_add_f64 v[38:39], v[253:254], v[168:169]
	v_mov_b32_e32 v254, v165
	v_mov_b32_e32 v253, v164
	v_mul_f64 v[120:121], v[253:254], s[46:47]
	s_waitcnt vmcnt(6)
	v_add_f64 v[241:242], v[241:242], v[247:248]
	s_waitcnt vmcnt(4)
	v_add_f64 v[42:43], v[179:180], v[42:43]
	s_waitcnt vmcnt(2)
	v_add_f64 v[18:19], v[18:19], -v[205:206]
	v_mul_f64 v[247:248], v[231:232], s[38:39]
	s_waitcnt vmcnt(0)
	v_add_f64 v[16:17], v[16:17], -v[24:25]
	buffer_load_dword v24, off, s[64:67], 0 offset:132 ; 4-byte Folded Reload
	buffer_load_dword v25, off, s[64:67], 0 offset:136 ; 4-byte Folded Reload
	v_add_f64 v[8:9], v[241:242], v[8:9]
	v_add_f64 v[10:11], v[18:19], v[10:11]
	buffer_load_dword v18, off, s[64:67], 0 offset:204 ; 4-byte Folded Reload
	buffer_load_dword v19, off, s[64:67], 0 offset:208 ; 4-byte Folded Reload
	v_add_f64 v[12:13], v[42:43], v[12:13]
	v_add_f64 v[42:43], v[166:167], -v[189:190]
	v_add_f64 v[14:15], v[16:17], v[14:15]
	buffer_load_dword v16, off, s[64:67], 0 offset:196 ; 4-byte Folded Reload
	buffer_load_dword v17, off, s[64:67], 0 offset:200 ; 4-byte Folded Reload
	v_add_f64 v[12:13], v[38:39], v[12:13]
	v_add_f64 v[10:11], v[42:43], v[10:11]
	v_mov_b32_e32 v42, v195
	v_mov_b32_e32 v43, v196
	v_add_f64 v[195:196], v[126:127], -v[94:95]
	s_waitcnt vmcnt(4)
	v_add_f64 v[24:25], v[245:246], v[24:25]
	s_waitcnt vmcnt(2)
	v_add_f64 v[18:19], v[18:19], -v[160:161]
	v_add_f64 v[160:161], v[215:216], v[162:163]
	v_add_f64 v[8:9], v[24:25], v[8:9]
	buffer_load_dword v24, off, s[64:67], 0 offset:188 ; 4-byte Folded Reload
	buffer_load_dword v25, off, s[64:67], 0 offset:192 ; 4-byte Folded Reload
	s_waitcnt vmcnt(2)
	v_add_f64 v[16:17], v[158:159], v[16:17]
	v_add_f64 v[14:15], v[18:19], v[14:15]
	v_add_f64 v[18:19], v[30:31], v[174:175]
	buffer_load_dword v36, off, s[64:67], 0 offset:180 ; 4-byte Folded Reload
	buffer_load_dword v37, off, s[64:67], 0 offset:184 ; 4-byte Folded Reload
	v_mov_b32_e32 v159, v43
	v_mov_b32_e32 v158, v42
	v_add_f64 v[8:9], v[160:161], v[8:9]
	v_add_f64 v[12:13], v[16:17], v[12:13]
	v_add_f64 v[16:17], v[172:173], -v[34:35]
	v_add_f64 v[0:1], v[0:1], v[14:15]
	v_mul_f64 v[14:15], v[42:43], s[54:55]
	v_add_f64 v[12:13], v[18:19], v[12:13]
	v_add_f64 v[18:19], v[20:21], v[0:1]
	v_mul_f64 v[20:21], v[253:254], s[48:49]
	v_mul_f64 v[0:1], v[229:230], s[28:29]
	v_fma_f64 v[34:35], v[183:184], s[8:9], -v[20:21]
	v_fma_f64 v[20:21], v[183:184], s[8:9], v[20:21]
	s_waitcnt vmcnt(2)
	v_add_f64 v[24:25], v[24:25], -v[197:198]
	s_waitcnt vmcnt(0)
	v_add_f64 v[36:37], v[156:157], v[36:37]
	v_mov_b32_e32 v156, v251
	v_mov_b32_e32 v157, v252
	v_fma_f64 v[251:252], v[225:226], s[24:25], -v[247:248]
	v_add_f64 v[10:11], v[24:25], v[10:11]
	v_add_f64 v[24:25], v[32:33], v[170:171]
	v_mul_f64 v[32:33], v[156:157], s[52:53]
	v_add_f64 v[8:9], v[36:37], v[8:9]
	v_fma_f64 v[36:37], v[203:204], s[24:25], v[28:29]
	v_fma_f64 v[28:29], v[203:204], s[24:25], -v[28:29]
	v_add_f64 v[10:11], v[16:17], v[10:11]
	v_add_f64 v[16:17], v[6:7], v[12:13]
	buffer_store_dword v16, off, s[64:67], 0 offset:100 ; 4-byte Folded Spill
	s_nop 0
	buffer_store_dword v17, off, s[64:67], 0 offset:104 ; 4-byte Folded Spill
	buffer_store_dword v18, off, s[64:67], 0 offset:108 ; 4-byte Folded Spill
	;; [unrolled: 1-line block ×3, first 2 shown]
	buffer_load_dword v179, off, s[64:67], 0 offset:324 ; 4-byte Folded Reload
	buffer_load_dword v180, off, s[64:67], 0 offset:328 ; 4-byte Folded Reload
	buffer_load_dword v205, off, s[64:67], 0 offset:332 ; 4-byte Folded Reload
	buffer_load_dword v206, off, s[64:67], 0 offset:336 ; 4-byte Folded Reload
	buffer_load_dword v215, off, s[64:67], 0 offset:316 ; 4-byte Folded Reload
	buffer_load_dword v216, off, s[64:67], 0 offset:320 ; 4-byte Folded Reload
	v_add_f64 v[8:9], v[24:25], v[8:9]
	v_add_f64 v[162:163], v[4:5], v[10:11]
	v_mul_f64 v[4:5], v[223:224], s[48:49]
	v_fma_f64 v[6:7], v[187:188], s[22:23], v[14:15]
	v_mul_f64 v[12:13], v[199:200], s[52:53]
	v_fma_f64 v[14:15], v[187:188], s[22:23], -v[14:15]
	v_fma_f64 v[40:41], v[191:192], s[44:45], -v[32:33]
	v_mul_f64 v[10:11], v[237:238], s[10:11]
	v_add_f64 v[160:161], v[2:3], v[8:9]
	v_mul_f64 v[8:9], v[221:222], s[60:61]
	v_fma_f64 v[18:19], v[185:186], s[8:9], v[4:5]
	v_add_f64 v[6:7], v[102:103], v[6:7]
	v_fma_f64 v[30:31], v[193:194], s[44:45], v[12:13]
	v_fma_f64 v[4:5], v[185:186], s[8:9], -v[4:5]
	v_add_f64 v[14:15], v[102:103], v[14:15]
	v_fma_f64 v[12:13], v[193:194], s[44:45], -v[12:13]
	v_fma_f64 v[16:17], v[227:228], s[26:27], v[0:1]
	v_fma_f64 v[26:27], v[219:220], s[30:31], v[8:9]
	v_fma_f64 v[8:9], v[219:220], s[30:31], -v[8:9]
	v_add_f64 v[6:7], v[18:19], v[6:7]
	v_mul_f64 v[18:19], v[213:214], s[20:21]
	v_fma_f64 v[0:1], v[227:228], s[26:27], -v[0:1]
	v_add_f64 v[4:5], v[4:5], v[14:15]
	v_add_f64 v[6:7], v[30:31], v[6:7]
	v_fma_f64 v[30:31], v[211:212], s[16:17], v[18:19]
	v_fma_f64 v[18:19], v[211:212], s[16:17], -v[18:19]
	v_add_f64 v[4:5], v[12:13], v[4:5]
	v_mul_f64 v[12:13], v[195:196], s[60:61]
	v_add_f64 v[6:7], v[36:37], v[6:7]
	v_add_f64 v[4:5], v[28:29], v[4:5]
	v_fma_f64 v[28:29], v[217:218], s[30:31], -v[12:13]
	v_fma_f64 v[12:13], v[217:218], s[30:31], v[12:13]
	v_add_f64 v[6:7], v[30:31], v[6:7]
	v_fma_f64 v[30:31], v[191:192], s[44:45], v[32:33]
	v_add_f64 v[4:5], v[18:19], v[4:5]
	v_mul_f64 v[18:19], v[239:240], s[10:11]
	v_add_f64 v[6:7], v[26:27], v[6:7]
	v_add_f64 v[4:5], v[8:9], v[4:5]
	v_fma_f64 v[8:9], v[233:234], s[2:3], -v[18:19]
	v_fma_f64 v[18:19], v[233:234], s[2:3], v[18:19]
	v_add_f64 v[6:7], v[16:17], v[6:7]
	v_add_f64 v[0:1], v[0:1], v[4:5]
	v_mul_f64 v[4:5], v[223:224], s[20:21]
	s_waitcnt vmcnt(4)
	v_mul_f64 v[2:3], v[179:180], s[54:55]
	s_waitcnt vmcnt(2)
	;; [unrolled: 2-line block ×3, first 2 shown]
	v_mul_f64 v[14:15], v[215:216], s[20:21]
	v_mul_f64 v[112:113], v[179:180], s[28:29]
	;; [unrolled: 1-line block ×3, first 2 shown]
	v_fma_f64 v[24:25], v[177:178], s[22:23], -v[2:3]
	v_fma_f64 v[2:3], v[177:178], s[22:23], v[2:3]
	v_fma_f64 v[36:37], v[209:210], s[16:17], -v[14:15]
	v_fma_f64 v[26:27], v[201:202], s[24:25], v[38:39]
	v_fma_f64 v[14:15], v[209:210], s[16:17], v[14:15]
	v_add_f64 v[24:25], v[100:101], v[24:25]
	v_add_f64 v[2:3], v[100:101], v[2:3]
	;; [unrolled: 1-line block ×3, first 2 shown]
	v_fma_f64 v[34:35], v[201:202], s[24:25], -v[38:39]
	v_add_f64 v[2:3], v[20:21], v[2:3]
	v_mul_f64 v[20:21], v[231:232], s[28:29]
	v_mul_f64 v[38:39], v[215:216], s[50:51]
	v_add_f64 v[24:25], v[40:41], v[24:25]
	v_add_f64 v[2:3], v[30:31], v[2:3]
	v_fma_f64 v[30:31], v[225:226], s[26:27], -v[20:21]
	v_fma_f64 v[168:169], v[209:210], s[24:25], -v[38:39]
	v_add_f64 v[24:25], v[34:35], v[24:25]
	v_mul_f64 v[34:35], v[205:206], s[40:41]
	v_add_f64 v[2:3], v[26:27], v[2:3]
	v_mul_f64 v[26:27], v[156:157], s[36:37]
	v_add_f64 v[24:25], v[36:37], v[24:25]
	v_fma_f64 v[40:41], v[201:202], s[26:27], -v[34:35]
	v_add_f64 v[2:3], v[14:15], v[2:3]
	v_fma_f64 v[14:15], v[225:226], s[26:27], v[20:21]
	v_fma_f64 v[36:37], v[191:192], s[22:23], -v[26:27]
	v_fma_f64 v[26:27], v[191:192], s[22:23], v[26:27]
	v_add_f64 v[24:25], v[28:29], v[24:25]
	v_fma_f64 v[28:29], v[235:236], s[2:3], v[10:11]
	v_fma_f64 v[10:11], v[235:236], s[2:3], -v[10:11]
	v_add_f64 v[2:3], v[12:13], v[2:3]
	v_mul_f64 v[12:13], v[253:254], s[20:21]
	v_add_f64 v[16:17], v[30:31], v[24:25]
	v_mul_f64 v[24:25], v[42:43], s[34:35]
	;; [unrolled: 2-line block ×4, first 2 shown]
	v_fma_f64 v[10:11], v[185:186], s[16:17], v[4:5]
	v_fma_f64 v[28:29], v[183:184], s[16:17], -v[12:13]
	v_add_f64 v[164:165], v[8:9], v[16:17]
	v_fma_f64 v[8:9], v[187:188], s[30:31], v[24:25]
	v_add_f64 v[2:3], v[14:15], v[2:3]
	v_fma_f64 v[16:17], v[177:178], s[30:31], -v[6:7]
	v_mul_f64 v[14:15], v[207:208], s[40:41]
	v_fma_f64 v[20:21], v[193:194], s[22:23], v[0:1]
	v_fma_f64 v[24:25], v[187:188], s[30:31], -v[24:25]
	v_mul_f64 v[30:31], v[213:214], s[50:51]
	v_fma_f64 v[4:5], v[185:186], s[16:17], -v[4:5]
	v_add_f64 v[8:9], v[102:103], v[8:9]
	v_mul_f64 v[42:43], v[195:196], s[18:19]
	v_add_f64 v[16:17], v[100:101], v[16:17]
	v_fma_f64 v[32:33], v[203:204], s[26:27], v[14:15]
	v_fma_f64 v[0:1], v[193:194], s[22:23], -v[0:1]
	v_add_f64 v[24:25], v[102:103], v[24:25]
	v_fma_f64 v[6:7], v[177:178], s[30:31], v[6:7]
	v_fma_f64 v[14:15], v[203:204], s[26:27], -v[14:15]
	v_add_f64 v[8:9], v[10:11], v[8:9]
	v_mul_f64 v[10:11], v[237:238], s[52:53]
	v_add_f64 v[16:17], v[28:29], v[16:17]
	v_fma_f64 v[28:29], v[211:212], s[24:25], v[30:31]
	v_fma_f64 v[12:13], v[183:184], s[16:17], v[12:13]
	v_add_f64 v[4:5], v[4:5], v[24:25]
	v_add_f64 v[6:7], v[100:101], v[6:7]
	v_fma_f64 v[30:31], v[211:212], s[24:25], -v[30:31]
	v_add_f64 v[8:9], v[20:21], v[8:9]
	v_mul_f64 v[20:21], v[221:222], s[18:19]
	v_add_f64 v[16:17], v[36:37], v[16:17]
	v_add_f64 v[0:1], v[0:1], v[4:5]
	;; [unrolled: 1-line block ×3, first 2 shown]
	v_mul_f64 v[12:13], v[158:159], s[50:51]
	v_add_f64 v[8:9], v[32:33], v[8:9]
	v_mul_f64 v[32:33], v[229:230], s[58:59]
	v_add_f64 v[16:17], v[40:41], v[16:17]
	v_fma_f64 v[36:37], v[219:220], s[8:9], v[20:21]
	v_fma_f64 v[40:41], v[217:218], s[8:9], -v[42:43]
	v_add_f64 v[0:1], v[14:15], v[0:1]
	v_fma_f64 v[14:15], v[235:236], s[44:45], v[10:11]
	v_fma_f64 v[20:21], v[219:220], s[8:9], -v[20:21]
	v_add_f64 v[8:9], v[28:29], v[8:9]
	v_mul_f64 v[28:29], v[231:232], s[58:59]
	v_add_f64 v[4:5], v[168:169], v[16:17]
	v_fma_f64 v[24:25], v[227:228], s[2:3], v[32:33]
	v_mul_f64 v[16:17], v[239:240], s[52:53]
	v_add_f64 v[0:1], v[30:31], v[0:1]
	v_add_f64 v[6:7], v[26:27], v[6:7]
	;; [unrolled: 1-line block ×4, first 2 shown]
	v_fma_f64 v[36:37], v[225:226], s[2:3], -v[28:29]
	v_add_f64 v[4:5], v[40:41], v[4:5]
	v_fma_f64 v[2:3], v[227:228], s[2:3], -v[32:33]
	v_mul_f64 v[18:19], v[223:224], s[10:11]
	v_add_f64 v[0:1], v[20:21], v[0:1]
	v_fma_f64 v[20:21], v[187:188], s[24:25], v[12:13]
	v_mul_f64 v[26:27], v[199:200], s[42:43]
	v_add_f64 v[8:9], v[24:25], v[8:9]
	v_fma_f64 v[24:25], v[233:234], s[44:45], -v[16:17]
	v_add_f64 v[4:5], v[36:37], v[4:5]
	v_fma_f64 v[12:13], v[187:188], s[24:25], -v[12:13]
	v_fma_f64 v[30:31], v[185:186], s[2:3], v[18:19]
	v_add_f64 v[0:1], v[2:3], v[0:1]
	v_fma_f64 v[2:3], v[217:218], s[8:9], v[42:43]
	v_add_f64 v[20:21], v[102:103], v[20:21]
	v_add_f64 v[174:175], v[14:15], v[8:9]
	v_fma_f64 v[8:9], v[201:202], s[26:27], v[34:35]
	v_add_f64 v[172:173], v[24:25], v[4:5]
	v_fma_f64 v[4:5], v[235:236], s[44:45], -v[10:11]
	v_mul_f64 v[10:11], v[179:180], s[50:51]
	v_fma_f64 v[14:15], v[209:210], s[24:25], v[38:39]
	v_mul_f64 v[34:35], v[207:208], s[36:37]
	v_fma_f64 v[36:37], v[193:194], s[16:17], v[26:27]
	v_add_f64 v[20:21], v[30:31], v[20:21]
	v_add_f64 v[6:7], v[8:9], v[6:7]
	v_mul_f64 v[8:9], v[253:254], s[10:11]
	v_mul_f64 v[30:31], v[205:206], s[36:37]
	v_fma_f64 v[24:25], v[177:178], s[24:25], -v[10:11]
	v_fma_f64 v[18:19], v[185:186], s[2:3], -v[18:19]
	v_add_f64 v[12:13], v[102:103], v[12:13]
	v_fma_f64 v[38:39], v[203:204], s[22:23], v[34:35]
	v_add_f64 v[20:21], v[36:37], v[20:21]
	v_add_f64 v[6:7], v[14:15], v[6:7]
	v_fma_f64 v[14:15], v[225:226], s[2:3], v[28:29]
	v_mul_f64 v[28:29], v[156:157], s[42:43]
	v_fma_f64 v[32:33], v[183:184], s[2:3], -v[8:9]
	v_add_f64 v[24:25], v[100:101], v[24:25]
	v_mul_f64 v[36:37], v[215:216], s[52:53]
	v_fma_f64 v[40:41], v[201:202], s[22:23], -v[30:31]
	v_fma_f64 v[26:27], v[193:194], s[16:17], -v[26:27]
	v_add_f64 v[2:3], v[2:3], v[6:7]
	v_add_f64 v[12:13], v[18:19], v[12:13]
	v_fma_f64 v[6:7], v[191:192], s[16:17], -v[28:29]
	v_add_f64 v[20:21], v[38:39], v[20:21]
	v_add_f64 v[24:25], v[32:33], v[24:25]
	v_mul_f64 v[32:33], v[213:214], s[52:53]
	v_mul_f64 v[38:39], v[195:196], s[28:29]
	v_fma_f64 v[181:182], v[209:210], s[44:45], -v[36:37]
	v_fma_f64 v[34:35], v[203:204], s[22:23], -v[34:35]
	v_add_f64 v[12:13], v[26:27], v[12:13]
	v_mul_f64 v[18:19], v[229:230], s[34:35]
	v_mul_f64 v[26:27], v[237:238], s[18:19]
	v_add_f64 v[6:7], v[6:7], v[24:25]
	v_mul_f64 v[24:25], v[221:222], s[28:29]
	v_fma_f64 v[42:43], v[211:212], s[44:45], v[32:33]
	v_fma_f64 v[189:190], v[217:218], s[26:27], -v[38:39]
	v_fma_f64 v[32:33], v[211:212], s[44:45], -v[32:33]
	v_add_f64 v[12:13], v[34:35], v[12:13]
	v_fma_f64 v[16:17], v[233:234], s[44:45], v[16:17]
	v_add_f64 v[14:15], v[14:15], v[2:3]
	v_add_f64 v[6:7], v[40:41], v[6:7]
	v_fma_f64 v[40:41], v[219:220], s[26:27], v[24:25]
	v_add_f64 v[20:21], v[42:43], v[20:21]
	v_mul_f64 v[42:43], v[231:232], s[34:35]
	v_fma_f64 v[24:25], v[219:220], s[26:27], -v[24:25]
	v_add_f64 v[12:13], v[32:33], v[12:13]
	v_fma_f64 v[10:11], v[177:178], s[24:25], v[10:11]
	v_fma_f64 v[34:35], v[235:236], s[8:9], v[26:27]
	v_add_f64 v[6:7], v[181:182], v[6:7]
	v_fma_f64 v[181:182], v[227:228], s[30:31], v[18:19]
	v_add_f64 v[20:21], v[40:41], v[20:21]
	v_mul_f64 v[40:41], v[239:240], s[18:19]
	v_fma_f64 v[197:198], v[225:226], s[30:31], -v[42:43]
	v_add_f64 v[2:3], v[4:5], v[0:1]
	v_add_f64 v[0:1], v[16:17], v[14:15]
	v_fma_f64 v[14:15], v[227:228], s[30:31], -v[18:19]
	v_add_f64 v[6:7], v[189:190], v[6:7]
	v_mul_f64 v[16:17], v[158:159], s[46:47]
	v_add_f64 v[20:21], v[181:182], v[20:21]
	v_fma_f64 v[181:182], v[233:234], s[8:9], -v[40:41]
	v_add_f64 v[12:13], v[24:25], v[12:13]
	v_fma_f64 v[8:9], v[183:184], s[2:3], v[8:9]
	v_mul_f64 v[18:19], v[179:180], s[46:47]
	v_add_f64 v[10:11], v[100:101], v[10:11]
	v_add_f64 v[32:33], v[197:198], v[6:7]
	v_mul_f64 v[24:25], v[223:224], s[34:35]
	v_add_f64 v[6:7], v[34:35], v[20:21]
	v_fma_f64 v[20:21], v[235:236], s[8:9], -v[26:27]
	v_fma_f64 v[26:27], v[187:188], s[44:45], v[16:17]
	v_add_f64 v[12:13], v[14:15], v[12:13]
	v_fma_f64 v[14:15], v[191:192], s[16:17], v[28:29]
	v_mul_f64 v[28:29], v[253:254], s[34:35]
	v_add_f64 v[4:5], v[181:182], v[32:33]
	v_fma_f64 v[32:33], v[177:178], s[44:45], -v[18:19]
	v_add_f64 v[8:9], v[8:9], v[10:11]
	v_mul_f64 v[10:11], v[199:200], s[10:11]
	v_fma_f64 v[34:35], v[185:186], s[30:31], v[24:25]
	v_add_f64 v[26:27], v[102:103], v[26:27]
	v_fma_f64 v[30:31], v[201:202], s[22:23], v[30:31]
	v_mul_f64 v[181:182], v[156:157], s[10:11]
	v_fma_f64 v[189:190], v[183:184], s[30:31], -v[28:29]
	v_add_f64 v[32:33], v[100:101], v[32:33]
	v_add_f64 v[8:9], v[14:15], v[8:9]
	v_mul_f64 v[14:15], v[207:208], s[20:21]
	v_fma_f64 v[197:198], v[193:194], s[2:3], v[10:11]
	v_add_f64 v[26:27], v[34:35], v[26:27]
	v_fma_f64 v[34:35], v[209:210], s[44:45], v[36:37]
	v_mul_f64 v[36:37], v[205:206], s[20:21]
	v_fma_f64 v[241:242], v[191:192], s[2:3], -v[181:182]
	v_add_f64 v[32:33], v[189:190], v[32:33]
	;; [unrolled: 8-line block ×4, first 2 shown]
	v_add_f64 v[8:9], v[38:39], v[8:9]
	v_fma_f64 v[243:244], v[219:220], s[22:23], v[34:35]
	v_fma_f64 v[40:41], v[233:234], s[8:9], v[40:41]
	v_add_f64 v[26:27], v[241:242], v[26:27]
	v_fma_f64 v[16:17], v[187:188], s[44:45], -v[16:17]
	v_fma_f64 v[241:242], v[217:218], s[22:23], -v[189:190]
	;; [unrolled: 1-line block ×3, first 2 shown]
	v_add_f64 v[32:33], v[245:246], v[32:33]
	v_add_f64 v[8:9], v[42:43], v[8:9]
	v_fma_f64 v[14:15], v[203:204], s[16:17], -v[14:15]
	v_fma_f64 v[30:31], v[211:212], s[8:9], -v[30:31]
	v_add_f64 v[26:27], v[243:244], v[26:27]
	v_add_f64 v[243:244], v[20:21], v[12:13]
	v_add_f64 v[12:13], v[102:103], v[16:17]
	v_mul_f64 v[38:39], v[229:230], s[38:39]
	v_add_f64 v[32:33], v[241:242], v[32:33]
	v_add_f64 v[241:242], v[40:41], v[8:9]
	v_fma_f64 v[8:9], v[185:186], s[30:31], -v[24:25]
	v_mul_f64 v[42:43], v[237:238], s[40:41]
	v_fma_f64 v[18:19], v[177:178], s[44:45], v[18:19]
	v_fma_f64 v[28:29], v[183:184], s[30:31], v[28:29]
	v_fma_f64 v[16:17], v[233:234], s[26:27], -v[249:250]
	v_fma_f64 v[245:246], v[227:228], s[24:25], v[38:39]
	v_add_f64 v[24:25], v[251:252], v[32:33]
	v_fma_f64 v[32:33], v[227:228], s[24:25], -v[38:39]
	v_add_f64 v[8:9], v[8:9], v[12:13]
	v_fma_f64 v[12:13], v[219:220], s[22:23], -v[34:35]
	v_fma_f64 v[20:21], v[235:236], s[26:27], -v[42:43]
	v_mul_f64 v[38:39], v[158:159], s[28:29]
	v_fma_f64 v[40:41], v[235:236], s[26:27], v[42:43]
	v_mul_f64 v[34:35], v[223:224], s[46:47]
	v_add_f64 v[18:19], v[100:101], v[18:19]
	v_add_f64 v[26:27], v[245:246], v[26:27]
	;; [unrolled: 1-line block ×3, first 2 shown]
	v_fma_f64 v[10:11], v[191:192], s[2:3], v[181:182]
	v_fma_f64 v[42:43], v[187:188], s[26:27], v[38:39]
	v_fma_f64 v[38:39], v[187:188], s[26:27], -v[38:39]
	v_fma_f64 v[181:182], v[185:186], s[44:45], v[34:35]
	v_fma_f64 v[34:35], v[185:186], s[44:45], -v[34:35]
	v_add_f64 v[18:19], v[28:29], v[18:19]
	v_add_f64 v[8:9], v[14:15], v[8:9]
	v_fma_f64 v[14:15], v[201:202], s[16:17], v[36:37]
	v_add_f64 v[36:37], v[110:111], v[106:107]
	v_add_f64 v[42:43], v[102:103], v[42:43]
	;; [unrolled: 1-line block ×3, first 2 shown]
	v_fma_f64 v[102:103], v[183:184], s[44:45], v[120:121]
	v_fma_f64 v[120:121], v[183:184], s[44:45], -v[120:121]
	v_mul_f64 v[28:29], v[199:200], s[50:51]
	v_add_f64 v[8:9], v[30:31], v[8:9]
	v_add_f64 v[10:11], v[10:11], v[18:19]
	;; [unrolled: 1-line block ×5, first 2 shown]
	buffer_load_dword v182, off, s[64:67], 0 offset:276 ; 4-byte Folded Reload
	buffer_load_dword v255, off, s[64:67], 0 offset:92 ; 4-byte Folded Reload
	buffer_load_dword v181, off, s[64:67], 0 ; 4-byte Folded Reload
	v_mul_f64 v[18:19], v[207:208], s[34:35]
	v_fma_f64 v[106:107], v[193:194], s[24:25], v[28:29]
	v_add_f64 v[8:9], v[12:13], v[8:9]
	v_fma_f64 v[12:13], v[217:218], s[22:23], v[189:190]
	v_add_f64 v[36:37], v[118:119], v[36:37]
	buffer_load_dword v190, off, s[64:67], 0 offset:228 ; 4-byte Folded Reload
	buffer_load_dword v189, off, s[64:67], 0 offset:140 ; 4-byte Folded Reload
	v_mul_f64 v[118:119], v[205:206], s[34:35]
	v_fma_f64 v[28:29], v[193:194], s[24:25], -v[28:29]
	v_fma_f64 v[30:31], v[209:210], s[8:9], v[197:198]
	v_add_f64 v[10:11], v[14:15], v[10:11]
	v_add_f64 v[8:9], v[32:33], v[8:9]
	v_mul_f64 v[14:15], v[213:214], s[54:55]
	v_add_f64 v[36:37], v[122:123], v[36:37]
	v_fma_f64 v[122:123], v[177:178], s[26:27], v[112:113]
	v_fma_f64 v[112:113], v[177:178], s[26:27], -v[112:113]
	v_add_f64 v[28:29], v[28:29], v[34:35]
	v_fma_f64 v[34:35], v[201:202], s[30:31], v[118:119]
	v_fma_f64 v[108:109], v[203:204], s[30:31], v[18:19]
	v_add_f64 v[20:21], v[20:21], v[8:9]
	v_fma_f64 v[18:19], v[203:204], s[30:31], -v[18:19]
	v_add_f64 v[8:9], v[126:127], v[36:37]
	v_add_f64 v[36:37], v[124:125], v[104:105]
	v_mul_f64 v[124:125], v[156:157], s[50:51]
	v_add_f64 v[122:123], v[100:101], v[122:123]
	v_add_f64 v[100:101], v[100:101], v[112:113]
	;; [unrolled: 1-line block ×4, first 2 shown]
	v_mul_f64 v[30:31], v[221:222], s[10:11]
	v_add_f64 v[8:9], v[130:131], v[8:9]
	v_add_f64 v[36:37], v[128:129], v[36:37]
	v_fma_f64 v[38:39], v[191:192], s[24:25], v[124:125]
	v_fma_f64 v[106:107], v[211:212], s[22:23], v[14:15]
	v_add_f64 v[100:101], v[120:121], v[100:101]
	v_fma_f64 v[14:15], v[211:212], s[22:23], -v[14:15]
	v_add_f64 v[18:19], v[18:19], v[28:29]
	v_add_f64 v[42:43], v[108:109], v[42:43]
	;; [unrolled: 1-line block ×4, first 2 shown]
	v_fma_f64 v[32:33], v[225:226], s[24:25], v[247:248]
	v_add_f64 v[10:11], v[12:13], v[10:11]
	v_mul_f64 v[12:13], v[229:230], s[18:19]
	v_fma_f64 v[108:109], v[219:220], s[2:3], v[30:31]
	v_mul_f64 v[114:115], v[195:196], s[10:11]
	v_fma_f64 v[28:29], v[209:210], s[22:23], v[116:117]
	v_add_f64 v[8:9], v[138:139], v[8:9]
	v_add_f64 v[36:37], v[136:137], v[36:37]
	v_fma_f64 v[30:31], v[219:220], s[2:3], -v[30:31]
	v_add_f64 v[14:15], v[14:15], v[18:19]
	v_add_f64 v[32:33], v[32:33], v[10:11]
	v_mul_f64 v[10:11], v[237:238], s[20:21]
	v_fma_f64 v[104:105], v[227:228], s[8:9], v[12:13]
	v_mul_f64 v[110:111], v[231:232], s[18:19]
	v_add_f64 v[8:9], v[98:99], v[8:9]
	v_add_f64 v[36:37], v[96:97], v[36:37]
	;; [unrolled: 1-line block ×3, first 2 shown]
	v_fma_f64 v[98:99], v[191:192], s[24:25], -v[124:125]
	v_fma_f64 v[18:19], v[217:218], s[2:3], v[114:115]
	v_fma_f64 v[12:13], v[227:228], s[8:9], -v[12:13]
	v_add_f64 v[14:15], v[30:31], v[14:15]
	v_fma_f64 v[30:31], v[225:226], s[8:9], v[110:111]
	v_add_f64 v[8:9], v[94:95], v[8:9]
	v_add_f64 v[36:37], v[92:93], v[36:37]
	;; [unrolled: 1-line block ×4, first 2 shown]
	buffer_load_dword v96, off, s[64:67], 0 offset:300 ; 4-byte Folded Reload
	buffer_load_dword v97, off, s[64:67], 0 offset:304 ; 4-byte Folded Reload
	;; [unrolled: 1-line block ×4, first 2 shown]
	v_fma_f64 v[92:93], v[201:202], s[30:31], -v[118:119]
	v_add_f64 v[12:13], v[12:13], v[14:15]
	v_add_f64 v[42:43], v[106:107], v[42:43]
	v_fma_f64 v[106:107], v[233:234], s[26:27], v[249:250]
	v_add_f64 v[34:35], v[34:35], v[38:39]
	v_fma_f64 v[38:39], v[209:210], s[22:23], -v[116:117]
	v_add_f64 v[92:93], v[92:93], v[94:95]
	v_add_f64 v[42:43], v[108:109], v[42:43]
	v_mul_f64 v[108:109], v[239:240], s[20:21]
	v_add_f64 v[28:29], v[28:29], v[34:35]
	v_fma_f64 v[34:35], v[217:218], s[2:3], -v[114:115]
	v_add_f64 v[38:39], v[38:39], v[92:93]
	v_add_f64 v[42:43], v[104:105], v[42:43]
	;; [unrolled: 1-line block ×3, first 2 shown]
	v_fma_f64 v[28:29], v[225:226], s[8:9], -v[110:111]
	v_add_f64 v[34:35], v[34:35], v[38:39]
	v_fma_f64 v[38:39], v[235:236], s[16:17], -v[10:11]
	v_add_f64 v[18:19], v[30:31], v[18:19]
	v_fma_f64 v[30:31], v[235:236], s[16:17], v[10:11]
	v_add_f64 v[28:29], v[28:29], v[34:35]
	v_add_f64 v[10:11], v[38:39], v[12:13]
	s_waitcnt vmcnt(2)
	v_add_f64 v[36:37], v[96:97], v[36:37]
	buffer_load_dword v94, off, s[64:67], 0 offset:116 ; 4-byte Folded Reload
	buffer_load_dword v95, off, s[64:67], 0 offset:120 ; 4-byte Folded Reload
	buffer_load_dword v96, off, s[64:67], 0 offset:124 ; 4-byte Folded Reload
	buffer_load_dword v97, off, s[64:67], 0 offset:128 ; 4-byte Folded Reload
	s_waitcnt vmcnt(4)
	v_add_f64 v[8:9], v[98:99], v[8:9]
	v_add_f64 v[98:99], v[30:31], v[42:43]
	s_waitcnt vmcnt(2)
	v_add_f64 v[36:37], v[94:95], v[36:37]
	buffer_load_dword v92, off, s[64:67], 0 offset:284 ; 4-byte Folded Reload
	buffer_load_dword v93, off, s[64:67], 0 offset:288 ; 4-byte Folded Reload
	;; [unrolled: 1-line block ×4, first 2 shown]
	s_waitcnt vmcnt(4)
	v_add_f64 v[8:9], v[96:97], v[8:9]
	s_waitcnt vmcnt(0)
	v_add_f64 v[8:9], v[94:95], v[8:9]
	buffer_load_dword v94, off, s[64:67], 0 offset:252 ; 4-byte Folded Reload
	buffer_load_dword v95, off, s[64:67], 0 offset:256 ; 4-byte Folded Reload
	;; [unrolled: 1-line block ×8, first 2 shown]
	v_add_f64 v[36:37], v[92:93], v[36:37]
	v_fma_f64 v[92:93], v[233:234], s[16:17], v[108:109]
	s_waitcnt vmcnt(4)
	v_add_f64 v[8:9], v[96:97], v[8:9]
	v_add_f64 v[36:37], v[94:95], v[36:37]
	v_fma_f64 v[96:97], v[233:234], s[16:17], -v[108:109]
	v_add_f64 v[94:95], v[40:41], v[26:27]
	s_waitcnt vmcnt(0)
	v_add_f64 v[14:15], v[14:15], v[8:9]
	v_add_f64 v[8:9], v[92:93], v[18:19]
	;; [unrolled: 1-line block ×3, first 2 shown]
	buffer_load_dword v16, off, s[64:67], 0 offset:4 ; 4-byte Folded Reload
	buffer_load_dword v17, off, s[64:67], 0 offset:268 ; 4-byte Folded Reload
	v_add_f64 v[12:13], v[12:13], v[36:37]
	v_add_f64 v[18:19], v[106:107], v[32:33]
	;; [unrolled: 1-line block ×3, first 2 shown]
	s_waitcnt vmcnt(0)
	v_lshl_add_u32 v16, v17, 4, v16
	ds_write_b128 v16, v[12:15]
	ds_write_b128 v16, v[8:11] offset:16
	ds_write_b128 v16, v[18:21] offset:32
	;; [unrolled: 1-line block ×3, first 2 shown]
	buffer_load_dword v241, off, s[64:67], 0 offset:212 ; 4-byte Folded Reload
	buffer_load_dword v242, off, s[64:67], 0 offset:216 ; 4-byte Folded Reload
	;; [unrolled: 1-line block ×4, first 2 shown]
	ds_write_b128 v16, v[0:3] offset:64
	ds_write_b128 v16, v[168:171] offset:80
	;; [unrolled: 1-line block ×3, first 2 shown]
	buffer_load_dword v0, off, s[64:67], 0 offset:100 ; 4-byte Folded Reload
	buffer_load_dword v1, off, s[64:67], 0 offset:104 ; 4-byte Folded Reload
	buffer_load_dword v2, off, s[64:67], 0 offset:108 ; 4-byte Folded Reload
	buffer_load_dword v3, off, s[64:67], 0 offset:112 ; 4-byte Folded Reload
	s_waitcnt vmcnt(0)
	ds_write_b128 v16, v[0:3] offset:112
	ds_write_b128 v16, v[140:143] offset:128
	;; [unrolled: 1-line block ×10, first 2 shown]
.LBB0_17:
	s_or_b64 exec, exec, s[56:57]
	s_waitcnt lgkmcnt(0)
	s_barrier
	ds_read_b128 v[0:3], v23
	ds_read_b128 v[4:7], v23 offset:1088
	ds_read_b128 v[96:99], v23 offset:2720
	;; [unrolled: 1-line block ×7, first 2 shown]
	s_and_saveexec_b64 s[2:3], s[0:1]
	s_cbranch_execz .LBB0_19
; %bb.18:
	ds_read_b128 v[140:143], v23 offset:2176
	ds_read_b128 v[152:155], v23 offset:4896
	;; [unrolled: 1-line block ×4, first 2 shown]
.LBB0_19:
	s_or_b64 exec, exec, s[2:3]
	s_waitcnt lgkmcnt(5)
	v_mul_f64 v[20:21], v[50:51], v[98:99]
	v_mul_f64 v[24:25], v[50:51], v[96:97]
	buffer_load_dword v104, off, s[64:67], 0 offset:28 ; 4-byte Folded Reload
	buffer_load_dword v105, off, s[64:67], 0 offset:32 ; 4-byte Folded Reload
	;; [unrolled: 1-line block ×4, first 2 shown]
	s_waitcnt lgkmcnt(3)
	v_mul_f64 v[26:27], v[46:47], v[102:103]
	v_mul_f64 v[28:29], v[46:47], v[100:101]
	s_waitcnt lgkmcnt(0)
	v_mul_f64 v[42:43], v[54:55], v[18:19]
	v_fma_f64 v[20:21], v[48:49], v[96:97], v[20:21]
	v_fma_f64 v[24:25], v[48:49], v[98:99], -v[24:25]
	buffer_load_dword v96, off, s[64:67], 0 offset:44 ; 4-byte Folded Reload
	buffer_load_dword v97, off, s[64:67], 0 offset:48 ; 4-byte Folded Reload
	;; [unrolled: 1-line block ×8, first 2 shown]
	v_fma_f64 v[26:27], v[44:45], v[100:101], v[26:27]
	v_fma_f64 v[28:29], v[44:45], v[102:103], -v[28:29]
	v_mul_f64 v[44:45], v[54:55], v[16:17]
	v_fma_f64 v[16:17], v[52:53], v[16:17], v[42:43]
	s_waitcnt vmcnt(0)
	s_barrier
	v_add_f64 v[26:27], v[0:1], -v[26:27]
	v_add_f64 v[28:29], v[2:3], -v[28:29]
	v_fma_f64 v[18:19], v[52:53], v[18:19], -v[44:45]
	v_mul_f64 v[30:31], v[106:107], v[94:95]
	v_mul_f64 v[32:33], v[106:107], v[92:93]
	;; [unrolled: 1-line block ×6, first 2 shown]
	v_fma_f64 v[30:31], v[104:105], v[92:93], v[30:31]
	v_fma_f64 v[32:33], v[104:105], v[94:95], -v[32:33]
	v_fma_f64 v[8:9], v[96:97], v[8:9], v[34:35]
	v_fma_f64 v[10:11], v[96:97], v[10:11], -v[36:37]
	;; [unrolled: 2-line block ×3, first 2 shown]
	v_add_f64 v[30:31], v[20:21], -v[30:31]
	v_add_f64 v[32:33], v[24:25], -v[32:33]
	;; [unrolled: 1-line block ×6, first 2 shown]
	v_fma_f64 v[16:17], v[0:1], 2.0, -v[26:27]
	v_fma_f64 v[18:19], v[2:3], 2.0, -v[28:29]
	;; [unrolled: 1-line block ×8, first 2 shown]
	v_add_f64 v[4:5], v[26:27], v[32:33]
	v_add_f64 v[6:7], v[28:29], -v[30:31]
	v_add_f64 v[0:1], v[16:17], -v[0:1]
	;; [unrolled: 1-line block ×3, first 2 shown]
	v_add_f64 v[12:13], v[40:41], v[12:13]
	v_add_f64 v[14:15], v[42:43], -v[14:15]
	v_add_f64 v[8:9], v[20:21], -v[8:9]
	;; [unrolled: 1-line block ×3, first 2 shown]
	v_fma_f64 v[32:33], v[26:27], 2.0, -v[4:5]
	v_fma_f64 v[34:35], v[28:29], 2.0, -v[6:7]
	;; [unrolled: 1-line block ×8, first 2 shown]
	ds_write_b128 v182, v[16:19]
	ds_write_b128 v182, v[32:35] offset:272
	ds_write_b128 v182, v[0:3] offset:544
	;; [unrolled: 1-line block ×3, first 2 shown]
	ds_write_b128 v190, v[36:39]
	ds_write_b128 v190, v[40:43] offset:272
	ds_write_b128 v190, v[8:11] offset:544
	;; [unrolled: 1-line block ×3, first 2 shown]
	s_and_saveexec_b64 s[2:3], s[0:1]
	s_cbranch_execz .LBB0_21
; %bb.20:
	buffer_load_dword v12, off, s[64:67], 0 offset:60 ; 4-byte Folded Reload
	buffer_load_dword v13, off, s[64:67], 0 offset:64 ; 4-byte Folded Reload
	;; [unrolled: 1-line block ×8, first 2 shown]
	v_mul_f64 v[6:7], v[243:244], v[144:145]
	v_mul_f64 v[10:11], v[243:244], v[146:147]
	v_fma_f64 v[6:7], v[241:242], v[146:147], -v[6:7]
	v_fma_f64 v[10:11], v[241:242], v[144:145], v[10:11]
	s_waitcnt vmcnt(4)
	v_mul_f64 v[0:1], v[14:15], v[148:149]
	s_waitcnt vmcnt(0)
	v_mul_f64 v[2:3], v[18:19], v[154:155]
	v_mul_f64 v[4:5], v[18:19], v[152:153]
	;; [unrolled: 1-line block ×3, first 2 shown]
	v_fma_f64 v[0:1], v[12:13], v[150:151], -v[0:1]
	v_fma_f64 v[2:3], v[16:17], v[152:153], v[2:3]
	v_fma_f64 v[4:5], v[16:17], v[154:155], -v[4:5]
	v_fma_f64 v[8:9], v[12:13], v[148:149], v[8:9]
	v_add_f64 v[12:13], v[142:143], -v[0:1]
	v_add_f64 v[0:1], v[4:5], -v[6:7]
	v_add_f64 v[8:9], v[140:141], -v[8:9]
	v_add_f64 v[6:7], v[2:3], -v[10:11]
	v_fma_f64 v[14:15], v[142:143], 2.0, -v[12:13]
	v_fma_f64 v[4:5], v[4:5], 2.0, -v[0:1]
	;; [unrolled: 1-line block ×4, first 2 shown]
	v_add_f64 v[2:3], v[12:13], -v[6:7]
	v_add_f64 v[0:1], v[8:9], v[0:1]
	v_add_f64 v[6:7], v[14:15], -v[4:5]
	v_add_f64 v[4:5], v[16:17], -v[10:11]
	v_fma_f64 v[10:11], v[12:13], 2.0, -v[2:3]
	v_fma_f64 v[8:9], v[8:9], 2.0, -v[0:1]
	;; [unrolled: 1-line block ×4, first 2 shown]
	buffer_load_dword v17, off, s[64:67], 0 offset:4 ; 4-byte Folded Reload
	v_mul_u32_u24_e32 v16, 0x44, v255
	v_add_u32_e32 v16, v16, v189
	s_waitcnt vmcnt(0)
	v_lshl_add_u32 v16, v16, 4, v17
	ds_write_b128 v16, v[8:11] offset:272
	ds_write_b128 v16, v[4:7] offset:544
	ds_write_b128 v16, v[12:15]
	ds_write_b128 v16, v[0:3] offset:816
.LBB0_21:
	s_or_b64 exec, exec, s[2:3]
	s_waitcnt lgkmcnt(0)
	s_barrier
	ds_read_b128 v[0:3], v23
	ds_read_b128 v[4:7], v23 offset:1088
	ds_read_b128 v[8:11], v23 offset:2176
	;; [unrolled: 1-line block ×5, first 2 shown]
	s_waitcnt lgkmcnt(4)
	v_mul_f64 v[20:21], v[74:75], v[6:7]
	v_mul_f64 v[44:45], v[74:75], v[4:5]
	s_waitcnt lgkmcnt(3)
	v_mul_f64 v[46:47], v[66:67], v[10:11]
	v_mul_f64 v[48:49], v[66:67], v[8:9]
	ds_read_b128 v[28:31], v23 offset:6528
	ds_read_b128 v[32:35], v23 offset:7616
	s_waitcnt lgkmcnt(2)
	v_mul_f64 v[50:51], v[86:87], v[26:27]
	ds_read_b128 v[36:39], v23 offset:8704
	ds_read_b128 v[40:43], v23 offset:9792
	s_mov_b32 s2, 0x134454ff
	v_fma_f64 v[4:5], v[72:73], v[4:5], v[20:21]
	v_fma_f64 v[6:7], v[72:73], v[6:7], -v[44:45]
	v_mul_f64 v[20:21], v[62:63], v[14:15]
	v_mul_f64 v[44:45], v[62:63], v[12:13]
	v_fma_f64 v[8:9], v[64:65], v[8:9], v[46:47]
	v_mul_f64 v[46:47], v[58:59], v[18:19]
	v_fma_f64 v[10:11], v[64:65], v[10:11], -v[48:49]
	v_mul_f64 v[48:49], v[58:59], v[16:17]
	s_waitcnt lgkmcnt(3)
	v_mul_f64 v[52:53], v[78:79], v[30:31]
	s_mov_b32 s3, 0xbfee6f0e
	v_fma_f64 v[12:13], v[60:61], v[12:13], v[20:21]
	v_fma_f64 v[14:15], v[60:61], v[14:15], -v[44:45]
	v_mul_f64 v[20:21], v[86:87], v[24:25]
	v_fma_f64 v[16:17], v[56:57], v[16:17], v[46:47]
	v_add_f64 v[44:45], v[0:1], v[8:9]
	v_fma_f64 v[18:19], v[56:57], v[18:19], -v[48:49]
	v_fma_f64 v[23:24], v[84:85], v[24:25], v[50:51]
	v_fma_f64 v[46:47], v[76:77], v[28:29], v[52:53]
	s_waitcnt lgkmcnt(1)
	v_mul_f64 v[48:49], v[82:83], v[36:37]
	v_mul_f64 v[50:51], v[82:83], v[38:39]
	v_fma_f64 v[20:21], v[84:85], v[26:27], -v[20:21]
	v_mul_f64 v[25:26], v[78:79], v[28:29]
	v_add_f64 v[27:28], v[44:45], v[16:17]
	v_mul_f64 v[44:45], v[70:71], v[34:35]
	v_mul_f64 v[52:53], v[70:71], v[32:33]
	v_add_f64 v[54:55], v[16:17], v[46:47]
	v_fma_f64 v[38:39], v[80:81], v[38:39], -v[48:49]
	v_fma_f64 v[36:37], v[80:81], v[36:37], v[50:51]
	s_waitcnt lgkmcnt(0)
	v_mul_f64 v[48:49], v[90:91], v[42:43]
	v_mul_f64 v[50:51], v[90:91], v[40:41]
	v_fma_f64 v[25:26], v[76:77], v[30:31], -v[25:26]
	v_fma_f64 v[29:30], v[68:69], v[32:33], v[44:45]
	s_mov_b32 s1, 0x3fee6f0e
	v_fma_f64 v[31:32], v[54:55], -0.5, v[0:1]
	v_add_f64 v[44:45], v[10:11], -v[38:39]
	s_mov_b32 s0, s2
	v_fma_f64 v[40:41], v[88:89], v[40:41], v[48:49]
	v_add_f64 v[48:49], v[8:9], v[36:37]
	v_fma_f64 v[33:34], v[68:69], v[34:35], -v[52:53]
	v_fma_f64 v[42:43], v[88:89], v[42:43], -v[50:51]
	v_add_f64 v[52:53], v[18:19], -v[25:26]
	v_add_f64 v[54:55], v[8:9], -v[16:17]
	v_fma_f64 v[50:51], v[44:45], s[2:3], v[31:32]
	v_add_f64 v[56:57], v[36:37], -v[46:47]
	v_fma_f64 v[31:32], v[44:45], s[0:1], v[31:32]
	v_fma_f64 v[0:1], v[48:49], -0.5, v[0:1]
	s_mov_b32 s16, 0x4755a5e
	s_mov_b32 s17, 0xbfe2cf23
	;; [unrolled: 1-line block ×4, first 2 shown]
	v_add_f64 v[27:28], v[27:28], v[46:47]
	v_fma_f64 v[48:49], v[52:53], s[16:17], v[50:51]
	v_add_f64 v[50:51], v[54:55], v[56:57]
	v_add_f64 v[54:55], v[18:19], v[25:26]
	v_fma_f64 v[31:32], v[52:53], s[8:9], v[31:32]
	v_fma_f64 v[56:57], v[52:53], s[0:1], v[0:1]
	v_add_f64 v[58:59], v[16:17], -v[8:9]
	v_add_f64 v[60:61], v[46:47], -v[36:37]
	v_add_f64 v[62:63], v[2:3], v[10:11]
	v_fma_f64 v[0:1], v[52:53], s[2:3], v[0:1]
	s_mov_b32 s10, 0x372fe950
	s_mov_b32 s11, 0x3fd3c6ef
	v_add_f64 v[27:28], v[27:28], v[36:37]
	v_fma_f64 v[54:55], v[54:55], -0.5, v[2:3]
	v_add_f64 v[8:9], v[8:9], -v[36:37]
	v_fma_f64 v[35:36], v[50:51], s[10:11], v[48:49]
	v_fma_f64 v[48:49], v[50:51], s[10:11], v[31:32]
	v_fma_f64 v[31:32], v[44:45], s[16:17], v[56:57]
	v_add_f64 v[50:51], v[58:59], v[60:61]
	v_add_f64 v[52:53], v[62:63], v[18:19]
	v_fma_f64 v[0:1], v[44:45], s[8:9], v[0:1]
	v_add_f64 v[16:17], v[16:17], -v[46:47]
	v_fma_f64 v[56:57], v[8:9], s[0:1], v[54:55]
	v_add_f64 v[46:47], v[10:11], -v[18:19]
	v_add_f64 v[58:59], v[38:39], -v[25:26]
	v_fma_f64 v[54:55], v[8:9], s[2:3], v[54:55]
	v_add_f64 v[60:61], v[10:11], v[38:39]
	v_add_f64 v[44:45], v[52:53], v[25:26]
	v_fma_f64 v[31:32], v[50:51], s[10:11], v[31:32]
	v_add_f64 v[52:53], v[23:24], v[29:30]
	v_fma_f64 v[50:51], v[50:51], s[10:11], v[0:1]
	;; [unrolled: 2-line block ×4, first 2 shown]
	v_fma_f64 v[2:3], v[60:61], -0.5, v[2:3]
	v_add_f64 v[58:59], v[14:15], -v[42:43]
	v_fma_f64 v[52:53], v[52:53], -0.5, v[4:5]
	v_add_f64 v[44:45], v[44:45], v[38:39]
	v_add_f64 v[0:1], v[0:1], v[23:24]
	v_add_f64 v[10:11], v[18:19], -v[10:11]
	v_fma_f64 v[56:57], v[46:47], s[10:11], v[56:57]
	v_fma_f64 v[46:47], v[46:47], s[10:11], v[54:55]
	;; [unrolled: 1-line block ×3, first 2 shown]
	v_add_f64 v[18:19], v[25:26], -v[38:39]
	v_fma_f64 v[2:3], v[16:17], s[0:1], v[2:3]
	v_fma_f64 v[16:17], v[58:59], s[2:3], v[52:53]
	v_add_f64 v[25:26], v[20:21], -v[33:34]
	v_add_f64 v[37:38], v[12:13], -v[23:24]
	v_add_f64 v[60:61], v[40:41], -v[29:30]
	v_add_f64 v[62:63], v[12:13], v[40:41]
	v_add_f64 v[64:65], v[20:21], v[33:34]
	;; [unrolled: 1-line block ×3, first 2 shown]
	v_fma_f64 v[54:55], v[8:9], s[8:9], v[54:55]
	v_add_f64 v[10:11], v[10:11], v[18:19]
	v_fma_f64 v[2:3], v[8:9], s[16:17], v[2:3]
	v_fma_f64 v[8:9], v[25:26], s[16:17], v[16:17]
	v_add_f64 v[16:17], v[37:38], v[60:61]
	v_fma_f64 v[4:5], v[62:63], -0.5, v[4:5]
	v_fma_f64 v[18:19], v[58:59], s[0:1], v[52:53]
	v_fma_f64 v[37:38], v[64:65], -0.5, v[6:7]
	v_add_f64 v[52:53], v[12:13], -v[40:41]
	v_add_f64 v[62:63], v[0:1], v[40:41]
	v_add_f64 v[0:1], v[14:15], v[42:43]
	v_fma_f64 v[54:55], v[10:11], s[10:11], v[54:55]
	v_fma_f64 v[60:61], v[10:11], s[10:11], v[2:3]
	v_add_f64 v[64:65], v[23:24], -v[29:30]
	v_fma_f64 v[10:11], v[25:26], s[8:9], v[18:19]
	v_add_f64 v[66:67], v[14:15], -v[20:21]
	v_fma_f64 v[18:19], v[52:53], s[0:1], v[37:38]
	v_add_f64 v[68:69], v[42:43], -v[33:34]
	v_fma_f64 v[0:1], v[0:1], -0.5, v[6:7]
	v_add_f64 v[6:7], v[6:7], v[14:15]
	v_fma_f64 v[2:3], v[25:26], s[0:1], v[4:5]
	v_add_f64 v[12:13], v[23:24], -v[12:13]
	v_add_f64 v[23:24], v[29:30], -v[40:41]
	v_fma_f64 v[4:5], v[25:26], s[2:3], v[4:5]
	v_fma_f64 v[18:19], v[64:65], s[8:9], v[18:19]
	v_add_f64 v[25:26], v[66:67], v[68:69]
	v_fma_f64 v[29:30], v[64:65], s[2:3], v[0:1]
	v_add_f64 v[14:15], v[20:21], -v[14:15]
	v_add_f64 v[39:40], v[33:34], -v[42:43]
	v_fma_f64 v[0:1], v[64:65], s[0:1], v[0:1]
	v_add_f64 v[6:7], v[6:7], v[20:21]
	v_fma_f64 v[20:21], v[52:53], s[2:3], v[37:38]
	v_fma_f64 v[2:3], v[58:59], s[16:17], v[2:3]
	v_add_f64 v[12:13], v[12:13], v[23:24]
	v_fma_f64 v[4:5], v[58:59], s[8:9], v[4:5]
	v_fma_f64 v[18:19], v[25:26], s[10:11], v[18:19]
	;; [unrolled: 1-line block ×3, first 2 shown]
	v_add_f64 v[14:15], v[14:15], v[39:40]
	v_fma_f64 v[0:1], v[52:53], s[16:17], v[0:1]
	v_add_f64 v[6:7], v[6:7], v[33:34]
	v_fma_f64 v[20:21], v[64:65], s[16:17], v[20:21]
	v_fma_f64 v[8:9], v[16:17], s[10:11], v[8:9]
	v_fma_f64 v[10:11], v[16:17], s[10:11], v[10:11]
	v_fma_f64 v[2:3], v[12:13], s[10:11], v[2:3]
	v_fma_f64 v[12:13], v[12:13], s[10:11], v[4:5]
	v_mul_f64 v[4:5], v[18:19], s[16:17]
	v_fma_f64 v[16:17], v[14:15], s[10:11], v[23:24]
	v_fma_f64 v[14:15], v[14:15], s[10:11], v[0:1]
	v_add_f64 v[29:30], v[6:7], v[42:43]
	v_fma_f64 v[6:7], v[25:26], s[10:11], v[20:21]
	s_mov_b32 s18, 0x9b97f4a8
	s_mov_b32 s19, 0x3fe9e377
	v_mul_f64 v[18:19], v[18:19], s[18:19]
	v_fma_f64 v[20:21], v[8:9], s[18:19], v[4:5]
	v_mul_f64 v[4:5], v[16:17], s[2:3]
	v_mul_f64 v[23:24], v[14:15], s[2:3]
	s_mov_b32 s3, 0xbfd3c6ef
	s_mov_b32 s2, s10
	v_mul_f64 v[16:17], v[16:17], s[10:11]
	v_mul_f64 v[25:26], v[6:7], s[16:17]
	s_mov_b32 s17, 0xbfe9e377
	s_mov_b32 s16, s18
	v_mul_f64 v[14:15], v[14:15], s[2:3]
	v_mul_f64 v[6:7], v[6:7], s[16:17]
	v_fma_f64 v[41:42], v[8:9], s[8:9], v[18:19]
	v_fma_f64 v[33:34], v[2:3], s[10:11], v[4:5]
	;; [unrolled: 1-line block ×5, first 2 shown]
	v_add_f64 v[0:1], v[27:28], v[62:63]
	v_fma_f64 v[58:59], v[12:13], s[0:1], v[14:15]
	v_fma_f64 v[64:65], v[10:11], s[8:9], v[6:7]
	v_add_f64 v[2:3], v[44:45], v[29:30]
	v_add_f64 v[4:5], v[35:36], v[20:21]
	;; [unrolled: 1-line block ×9, first 2 shown]
	v_add_f64 v[23:24], v[27:28], -v[62:63]
	v_add_f64 v[39:40], v[48:49], -v[25:26]
	;; [unrolled: 1-line block ×10, first 2 shown]
	ds_write_b128 v22, v[0:3]
	ds_write_b128 v22, v[4:7] offset:1088
	ds_write_b128 v22, v[8:11] offset:2176
	;; [unrolled: 1-line block ×9, first 2 shown]
	s_waitcnt lgkmcnt(0)
	s_barrier
	s_and_b64 exec, exec, vcc
	s_cbranch_execz .LBB0_23
; %bb.22:
	buffer_load_dword v21, off, s[64:67], 0 offset:8 ; 4-byte Folded Reload
	ds_read_b128 v[4:7], v22
	ds_read_b128 v[8:11], v22 offset:640
	v_mad_u64_u32 v[12:13], s[0:1], s6, v176, 0
	v_mad_u64_u32 v[14:15], s[0:1], s4, v181, 0
	s_mul_i32 s3, s5, 0x280
	s_mul_hi_u32 s6, s4, 0x280
	v_mad_u64_u32 v[18:19], s[0:1], s7, v176, v[13:14]
	s_mul_i32 s2, s4, 0x280
	s_add_i32 s3, s6, s3
	v_mov_b32_e32 v13, v18
	v_mov_b32_e32 v18, s13
	s_movk_i32 s6, 0x1000
	v_or_b32_e32 v25, 0x140, v181
	s_waitcnt vmcnt(0)
	global_load_dwordx4 v[0:3], v21, s[12:13]
	s_waitcnt vmcnt(0) lgkmcnt(1)
	v_mul_f64 v[16:17], v[6:7], v[2:3]
	v_mul_f64 v[2:3], v[4:5], v[2:3]
	v_fma_f64 v[4:5], v[4:5], v[0:1], v[16:17]
	v_fma_f64 v[0:1], v[0:1], v[6:7], -v[2:3]
	v_mad_u64_u32 v[19:20], s[0:1], s5, v181, v[15:16]
	s_mov_b32 s0, 0x18181818
	s_mov_b32 s1, 0x3f581818
	v_lshlrev_b64 v[6:7], 4, v[12:13]
	v_mov_b32_e32 v15, v19
	v_mul_f64 v[2:3], v[4:5], s[0:1]
	v_mul_f64 v[4:5], v[0:1], s[0:1]
	v_mov_b32_e32 v16, s15
	v_lshlrev_b64 v[12:13], 4, v[14:15]
	v_add_co_u32_e32 v0, vcc, s14, v6
	v_addc_co_u32_e32 v1, vcc, v16, v7, vcc
	v_add_co_u32_e32 v6, vcc, v0, v12
	v_addc_co_u32_e32 v7, vcc, v1, v13, vcc
	global_store_dwordx4 v[6:7], v[2:5], off
	global_load_dwordx4 v[2:5], v21, s[12:13] offset:640
	v_add_co_u32_e32 v14, vcc, s2, v6
	s_waitcnt vmcnt(0) lgkmcnt(0)
	v_mul_f64 v[12:13], v[10:11], v[4:5]
	v_mul_f64 v[4:5], v[8:9], v[4:5]
	v_fma_f64 v[8:9], v[8:9], v[2:3], v[12:13]
	v_fma_f64 v[4:5], v[2:3], v[10:11], -v[4:5]
	v_mul_f64 v[2:3], v[8:9], s[0:1]
	v_mul_f64 v[4:5], v[4:5], s[0:1]
	v_mov_b32_e32 v8, s3
	v_addc_co_u32_e32 v15, vcc, v7, v8, vcc
	global_store_dwordx4 v[14:15], v[2:5], off
	global_load_dwordx4 v[2:5], v21, s[12:13] offset:1280
	ds_read_b128 v[6:9], v22 offset:1280
	ds_read_b128 v[10:13], v22 offset:1920
	s_waitcnt vmcnt(0) lgkmcnt(1)
	v_mul_f64 v[16:17], v[8:9], v[4:5]
	v_mul_f64 v[4:5], v[6:7], v[4:5]
	v_fma_f64 v[6:7], v[6:7], v[2:3], v[16:17]
	v_fma_f64 v[4:5], v[2:3], v[8:9], -v[4:5]
	v_mul_f64 v[2:3], v[6:7], s[0:1]
	v_mul_f64 v[4:5], v[4:5], s[0:1]
	v_mov_b32_e32 v7, s3
	v_add_co_u32_e32 v6, vcc, s2, v14
	v_addc_co_u32_e32 v7, vcc, v15, v7, vcc
	v_add_co_u32_e32 v14, vcc, s2, v6
	global_store_dwordx4 v[6:7], v[2:5], off
	global_load_dwordx4 v[2:5], v21, s[12:13] offset:1920
	s_waitcnt vmcnt(0) lgkmcnt(0)
	v_mul_f64 v[8:9], v[12:13], v[4:5]
	v_mul_f64 v[4:5], v[10:11], v[4:5]
	v_fma_f64 v[8:9], v[10:11], v[2:3], v[8:9]
	v_fma_f64 v[4:5], v[2:3], v[12:13], -v[4:5]
	v_mul_f64 v[2:3], v[8:9], s[0:1]
	v_mul_f64 v[4:5], v[4:5], s[0:1]
	v_mov_b32_e32 v8, s3
	v_addc_co_u32_e32 v15, vcc, v7, v8, vcc
	global_store_dwordx4 v[14:15], v[2:5], off
	global_load_dwordx4 v[2:5], v21, s[12:13] offset:2560
	ds_read_b128 v[6:9], v22 offset:2560
	ds_read_b128 v[10:13], v22 offset:3200
	s_waitcnt vmcnt(0) lgkmcnt(1)
	v_mul_f64 v[16:17], v[8:9], v[4:5]
	v_mul_f64 v[4:5], v[6:7], v[4:5]
	v_fma_f64 v[6:7], v[6:7], v[2:3], v[16:17]
	v_fma_f64 v[4:5], v[2:3], v[8:9], -v[4:5]
	v_mul_f64 v[2:3], v[6:7], s[0:1]
	v_mul_f64 v[4:5], v[4:5], s[0:1]
	v_mov_b32_e32 v7, s3
	v_add_co_u32_e32 v6, vcc, s2, v14
	v_addc_co_u32_e32 v7, vcc, v15, v7, vcc
	v_add_co_u32_e32 v14, vcc, s2, v6
	global_store_dwordx4 v[6:7], v[2:5], off
	global_load_dwordx4 v[2:5], v21, s[12:13] offset:3200
	s_waitcnt vmcnt(0) lgkmcnt(0)
	v_mul_f64 v[8:9], v[12:13], v[4:5]
	v_mul_f64 v[4:5], v[10:11], v[4:5]
	v_fma_f64 v[8:9], v[10:11], v[2:3], v[8:9]
	v_fma_f64 v[4:5], v[2:3], v[12:13], -v[4:5]
	v_mul_f64 v[2:3], v[8:9], s[0:1]
	v_mul_f64 v[4:5], v[4:5], s[0:1]
	v_mov_b32_e32 v8, s3
	v_addc_co_u32_e32 v15, vcc, v7, v8, vcc
	v_add_co_u32_e32 v23, vcc, s12, v21
	v_addc_co_u32_e32 v24, vcc, 0, v18, vcc
	global_store_dwordx4 v[14:15], v[2:5], off
	global_load_dwordx4 v[2:5], v21, s[12:13] offset:3840
	ds_read_b128 v[6:9], v22 offset:3840
	ds_read_b128 v[10:13], v22 offset:4480
	s_waitcnt vmcnt(0) lgkmcnt(1)
	v_mul_f64 v[16:17], v[8:9], v[4:5]
	v_mul_f64 v[4:5], v[6:7], v[4:5]
	v_fma_f64 v[6:7], v[6:7], v[2:3], v[16:17]
	v_fma_f64 v[4:5], v[2:3], v[8:9], -v[4:5]
	v_add_co_u32_e32 v16, vcc, s6, v23
	v_addc_co_u32_e32 v17, vcc, 0, v24, vcc
	v_mov_b32_e32 v8, s3
	v_mad_u64_u32 v[20:21], s[6:7], s4, v25, 0
	v_mul_f64 v[2:3], v[6:7], s[0:1]
	v_mul_f64 v[4:5], v[4:5], s[0:1]
	v_add_co_u32_e32 v6, vcc, s2, v14
	v_addc_co_u32_e32 v7, vcc, v15, v8, vcc
	v_add_co_u32_e32 v14, vcc, s2, v6
	global_store_dwordx4 v[6:7], v[2:5], off
	global_load_dwordx4 v[2:5], v[16:17], off offset:384
	s_waitcnt vmcnt(0) lgkmcnt(0)
	v_mul_f64 v[8:9], v[12:13], v[4:5]
	v_mul_f64 v[4:5], v[10:11], v[4:5]
	v_fma_f64 v[8:9], v[10:11], v[2:3], v[8:9]
	v_fma_f64 v[4:5], v[2:3], v[12:13], -v[4:5]
	v_mul_f64 v[2:3], v[8:9], s[0:1]
	v_mul_f64 v[4:5], v[4:5], s[0:1]
	v_mov_b32_e32 v9, s3
	v_addc_co_u32_e32 v15, vcc, v7, v9, vcc
	v_lshlrev_b32_e32 v8, 4, v25
	global_store_dwordx4 v[14:15], v[2:5], off
	global_load_dwordx4 v[2:5], v8, s[12:13]
	ds_read_b128 v[6:9], v22 offset:5120
	ds_read_b128 v[10:13], v22 offset:5760
	s_waitcnt vmcnt(0) lgkmcnt(1)
	v_mul_f64 v[18:19], v[8:9], v[4:5]
	v_mul_f64 v[4:5], v[6:7], v[4:5]
	v_fma_f64 v[6:7], v[6:7], v[2:3], v[18:19]
	v_fma_f64 v[4:5], v[2:3], v[8:9], -v[4:5]
	v_mov_b32_e32 v2, v21
	v_mad_u64_u32 v[8:9], s[6:7], s5, v25, v[2:3]
	v_mov_b32_e32 v21, v8
	v_mul_f64 v[2:3], v[6:7], s[0:1]
	v_mul_f64 v[4:5], v[4:5], s[0:1]
	v_lshlrev_b64 v[6:7], 4, v[20:21]
	v_add_co_u32_e32 v6, vcc, v0, v6
	v_addc_co_u32_e32 v7, vcc, v1, v7, vcc
	global_store_dwordx4 v[6:7], v[2:5], off
	global_load_dwordx4 v[2:5], v[16:17], off offset:1664
	s_waitcnt vmcnt(0) lgkmcnt(0)
	v_mul_f64 v[6:7], v[12:13], v[4:5]
	v_mul_f64 v[4:5], v[10:11], v[4:5]
	v_fma_f64 v[6:7], v[10:11], v[2:3], v[6:7]
	v_fma_f64 v[4:5], v[2:3], v[12:13], -v[4:5]
	v_mul_f64 v[2:3], v[6:7], s[0:1]
	v_mul_f64 v[4:5], v[4:5], s[0:1]
	v_mov_b32_e32 v6, 0x500
	v_mad_u64_u32 v[14:15], s[6:7], s4, v6, v[14:15]
	s_mul_i32 s6, s5, 0x500
	v_add_u32_e32 v15, s6, v15
	s_movk_i32 s6, 0x2000
	global_store_dwordx4 v[14:15], v[2:5], off
	global_load_dwordx4 v[2:5], v[16:17], off offset:2304
	ds_read_b128 v[6:9], v22 offset:6400
	ds_read_b128 v[10:13], v22 offset:7040
	s_waitcnt vmcnt(0) lgkmcnt(1)
	v_mul_f64 v[18:19], v[8:9], v[4:5]
	v_mul_f64 v[4:5], v[6:7], v[4:5]
	v_fma_f64 v[6:7], v[6:7], v[2:3], v[18:19]
	v_fma_f64 v[4:5], v[2:3], v[8:9], -v[4:5]
	v_mul_f64 v[2:3], v[6:7], s[0:1]
	v_mul_f64 v[4:5], v[4:5], s[0:1]
	v_mov_b32_e32 v7, s3
	v_add_co_u32_e32 v6, vcc, s2, v14
	v_addc_co_u32_e32 v7, vcc, v15, v7, vcc
	v_add_co_u32_e32 v14, vcc, s2, v6
	global_store_dwordx4 v[6:7], v[2:5], off
	global_load_dwordx4 v[2:5], v[16:17], off offset:2944
	s_waitcnt vmcnt(0) lgkmcnt(0)
	v_mul_f64 v[8:9], v[12:13], v[4:5]
	v_mul_f64 v[4:5], v[10:11], v[4:5]
	v_fma_f64 v[8:9], v[10:11], v[2:3], v[8:9]
	v_fma_f64 v[4:5], v[2:3], v[12:13], -v[4:5]
	v_mul_f64 v[2:3], v[8:9], s[0:1]
	v_mul_f64 v[4:5], v[4:5], s[0:1]
	v_mov_b32_e32 v8, s3
	v_addc_co_u32_e32 v15, vcc, v7, v8, vcc
	global_store_dwordx4 v[14:15], v[2:5], off
	global_load_dwordx4 v[2:5], v[16:17], off offset:3584
	ds_read_b128 v[6:9], v22 offset:7680
	ds_read_b128 v[10:13], v22 offset:8320
	s_waitcnt vmcnt(0) lgkmcnt(1)
	v_mul_f64 v[16:17], v[8:9], v[4:5]
	v_mul_f64 v[4:5], v[6:7], v[4:5]
	v_fma_f64 v[6:7], v[6:7], v[2:3], v[16:17]
	v_fma_f64 v[4:5], v[2:3], v[8:9], -v[4:5]
	v_add_co_u32_e32 v16, vcc, s6, v23
	v_addc_co_u32_e32 v17, vcc, 0, v24, vcc
	v_mov_b32_e32 v8, s3
	v_mul_f64 v[2:3], v[6:7], s[0:1]
	v_mul_f64 v[4:5], v[4:5], s[0:1]
	v_add_co_u32_e32 v6, vcc, s2, v14
	v_addc_co_u32_e32 v7, vcc, v15, v8, vcc
	v_add_co_u32_e32 v14, vcc, s2, v6
	global_store_dwordx4 v[6:7], v[2:5], off
	global_load_dwordx4 v[2:5], v[16:17], off offset:128
	s_waitcnt vmcnt(0) lgkmcnt(0)
	v_mul_f64 v[8:9], v[12:13], v[4:5]
	v_mul_f64 v[4:5], v[10:11], v[4:5]
	v_fma_f64 v[8:9], v[10:11], v[2:3], v[8:9]
	v_fma_f64 v[4:5], v[2:3], v[12:13], -v[4:5]
	v_mul_f64 v[2:3], v[8:9], s[0:1]
	v_mul_f64 v[4:5], v[4:5], s[0:1]
	v_mov_b32_e32 v8, s3
	v_addc_co_u32_e32 v15, vcc, v7, v8, vcc
	global_store_dwordx4 v[14:15], v[2:5], off
	global_load_dwordx4 v[2:5], v[16:17], off offset:768
	ds_read_b128 v[6:9], v22 offset:8960
	ds_read_b128 v[10:13], v22 offset:9600
	s_waitcnt vmcnt(0) lgkmcnt(1)
	v_mul_f64 v[18:19], v[8:9], v[4:5]
	v_mul_f64 v[4:5], v[6:7], v[4:5]
	v_fma_f64 v[6:7], v[6:7], v[2:3], v[18:19]
	v_fma_f64 v[4:5], v[2:3], v[8:9], -v[4:5]
	v_mul_f64 v[2:3], v[6:7], s[0:1]
	v_mul_f64 v[4:5], v[4:5], s[0:1]
	v_mov_b32_e32 v7, s3
	v_add_co_u32_e32 v6, vcc, s2, v14
	v_addc_co_u32_e32 v7, vcc, v15, v7, vcc
	global_store_dwordx4 v[6:7], v[2:5], off
	global_load_dwordx4 v[2:5], v[16:17], off offset:1408
	v_add_co_u32_e32 v6, vcc, s2, v6
	s_waitcnt vmcnt(0) lgkmcnt(0)
	v_mul_f64 v[8:9], v[12:13], v[4:5]
	v_mul_f64 v[4:5], v[10:11], v[4:5]
	v_fma_f64 v[8:9], v[10:11], v[2:3], v[8:9]
	v_fma_f64 v[4:5], v[2:3], v[12:13], -v[4:5]
	v_or_b32_e32 v12, 0x280, v181
	v_mul_f64 v[2:3], v[8:9], s[0:1]
	v_mul_f64 v[4:5], v[4:5], s[0:1]
	v_mov_b32_e32 v9, s3
	v_addc_co_u32_e32 v7, vcc, v7, v9, vcc
	v_lshlrev_b32_e32 v8, 4, v12
	global_store_dwordx4 v[6:7], v[2:5], off
	global_load_dwordx4 v[2:5], v8, s[12:13]
	ds_read_b128 v[6:9], v22 offset:10240
	s_waitcnt vmcnt(0) lgkmcnt(0)
	v_mul_f64 v[10:11], v[8:9], v[4:5]
	v_mul_f64 v[4:5], v[6:7], v[4:5]
	v_fma_f64 v[6:7], v[6:7], v[2:3], v[10:11]
	v_fma_f64 v[4:5], v[2:3], v[8:9], -v[4:5]
	v_mad_u64_u32 v[8:9], s[2:3], s4, v12, 0
	v_mov_b32_e32 v2, v9
	v_mad_u64_u32 v[9:10], s[2:3], s5, v12, v[2:3]
	v_mul_f64 v[2:3], v[6:7], s[0:1]
	v_mul_f64 v[4:5], v[4:5], s[0:1]
	v_lshlrev_b64 v[6:7], 4, v[8:9]
	v_add_co_u32_e32 v0, vcc, v0, v6
	v_addc_co_u32_e32 v1, vcc, v1, v7, vcc
	global_store_dwordx4 v[0:1], v[2:5], off
.LBB0_23:
	s_endpgm
	.section	.rodata,"a",@progbits
	.p2align	6, 0x0
	.amdhsa_kernel bluestein_single_fwd_len680_dim1_dp_op_CI_CI
		.amdhsa_group_segment_fixed_size 32640
		.amdhsa_private_segment_fixed_size 600
		.amdhsa_kernarg_size 104
		.amdhsa_user_sgpr_count 6
		.amdhsa_user_sgpr_private_segment_buffer 1
		.amdhsa_user_sgpr_dispatch_ptr 0
		.amdhsa_user_sgpr_queue_ptr 0
		.amdhsa_user_sgpr_kernarg_segment_ptr 1
		.amdhsa_user_sgpr_dispatch_id 0
		.amdhsa_user_sgpr_flat_scratch_init 0
		.amdhsa_user_sgpr_private_segment_size 0
		.amdhsa_uses_dynamic_stack 0
		.amdhsa_system_sgpr_private_segment_wavefront_offset 1
		.amdhsa_system_sgpr_workgroup_id_x 1
		.amdhsa_system_sgpr_workgroup_id_y 0
		.amdhsa_system_sgpr_workgroup_id_z 0
		.amdhsa_system_sgpr_workgroup_info 0
		.amdhsa_system_vgpr_workitem_id 0
		.amdhsa_next_free_vgpr 256
		.amdhsa_next_free_sgpr 68
		.amdhsa_reserve_vcc 1
		.amdhsa_reserve_flat_scratch 0
		.amdhsa_float_round_mode_32 0
		.amdhsa_float_round_mode_16_64 0
		.amdhsa_float_denorm_mode_32 3
		.amdhsa_float_denorm_mode_16_64 3
		.amdhsa_dx10_clamp 1
		.amdhsa_ieee_mode 1
		.amdhsa_fp16_overflow 0
		.amdhsa_exception_fp_ieee_invalid_op 0
		.amdhsa_exception_fp_denorm_src 0
		.amdhsa_exception_fp_ieee_div_zero 0
		.amdhsa_exception_fp_ieee_overflow 0
		.amdhsa_exception_fp_ieee_underflow 0
		.amdhsa_exception_fp_ieee_inexact 0
		.amdhsa_exception_int_div_zero 0
	.end_amdhsa_kernel
	.text
.Lfunc_end0:
	.size	bluestein_single_fwd_len680_dim1_dp_op_CI_CI, .Lfunc_end0-bluestein_single_fwd_len680_dim1_dp_op_CI_CI
                                        ; -- End function
	.section	.AMDGPU.csdata,"",@progbits
; Kernel info:
; codeLenInByte = 28564
; NumSgprs: 72
; NumVgprs: 256
; ScratchSize: 600
; MemoryBound: 0
; FloatMode: 240
; IeeeMode: 1
; LDSByteSize: 32640 bytes/workgroup (compile time only)
; SGPRBlocks: 8
; VGPRBlocks: 63
; NumSGPRsForWavesPerEU: 72
; NumVGPRsForWavesPerEU: 256
; Occupancy: 1
; WaveLimiterHint : 1
; COMPUTE_PGM_RSRC2:SCRATCH_EN: 1
; COMPUTE_PGM_RSRC2:USER_SGPR: 6
; COMPUTE_PGM_RSRC2:TRAP_HANDLER: 0
; COMPUTE_PGM_RSRC2:TGID_X_EN: 1
; COMPUTE_PGM_RSRC2:TGID_Y_EN: 0
; COMPUTE_PGM_RSRC2:TGID_Z_EN: 0
; COMPUTE_PGM_RSRC2:TIDIG_COMP_CNT: 0
	.type	__hip_cuid_6b41c4199321711b,@object ; @__hip_cuid_6b41c4199321711b
	.section	.bss,"aw",@nobits
	.globl	__hip_cuid_6b41c4199321711b
__hip_cuid_6b41c4199321711b:
	.byte	0                               ; 0x0
	.size	__hip_cuid_6b41c4199321711b, 1

	.ident	"AMD clang version 19.0.0git (https://github.com/RadeonOpenCompute/llvm-project roc-6.4.0 25133 c7fe45cf4b819c5991fe208aaa96edf142730f1d)"
	.section	".note.GNU-stack","",@progbits
	.addrsig
	.addrsig_sym __hip_cuid_6b41c4199321711b
	.amdgpu_metadata
---
amdhsa.kernels:
  - .args:
      - .actual_access:  read_only
        .address_space:  global
        .offset:         0
        .size:           8
        .value_kind:     global_buffer
      - .actual_access:  read_only
        .address_space:  global
        .offset:         8
        .size:           8
        .value_kind:     global_buffer
      - .actual_access:  read_only
        .address_space:  global
        .offset:         16
        .size:           8
        .value_kind:     global_buffer
      - .actual_access:  read_only
        .address_space:  global
        .offset:         24
        .size:           8
        .value_kind:     global_buffer
      - .actual_access:  read_only
        .address_space:  global
        .offset:         32
        .size:           8
        .value_kind:     global_buffer
      - .offset:         40
        .size:           8
        .value_kind:     by_value
      - .address_space:  global
        .offset:         48
        .size:           8
        .value_kind:     global_buffer
      - .address_space:  global
        .offset:         56
        .size:           8
        .value_kind:     global_buffer
      - .address_space:  global
        .offset:         64
        .size:           8
        .value_kind:     global_buffer
      - .address_space:  global
        .offset:         72
        .size:           8
        .value_kind:     global_buffer
      - .offset:         80
        .size:           4
        .value_kind:     by_value
      - .address_space:  global
        .offset:         88
        .size:           8
        .value_kind:     global_buffer
      - .address_space:  global
        .offset:         96
        .size:           8
        .value_kind:     global_buffer
    .group_segment_fixed_size: 32640
    .kernarg_segment_align: 8
    .kernarg_segment_size: 104
    .language:       OpenCL C
    .language_version:
      - 2
      - 0
    .max_flat_workgroup_size: 204
    .name:           bluestein_single_fwd_len680_dim1_dp_op_CI_CI
    .private_segment_fixed_size: 600
    .sgpr_count:     72
    .sgpr_spill_count: 0
    .symbol:         bluestein_single_fwd_len680_dim1_dp_op_CI_CI.kd
    .uniform_work_group_size: 1
    .uses_dynamic_stack: false
    .vgpr_count:     256
    .vgpr_spill_count: 210
    .wavefront_size: 64
amdhsa.target:   amdgcn-amd-amdhsa--gfx906
amdhsa.version:
  - 1
  - 2
...

	.end_amdgpu_metadata
